;; amdgpu-corpus repo=ROCm/rocBLAS kind=compiled arch=gfx906 opt=O3
	.amdgcn_target "amdgcn-amd-amdhsa--gfx906"
	.amdhsa_code_object_version 6
	.section	.text._ZL19rocblas_sbmv_kernelILb1ELi64ELi16EPKfS1_PfEviiT2_lT3_lllS4_lllS3_lT4_llli,"axG",@progbits,_ZL19rocblas_sbmv_kernelILb1ELi64ELi16EPKfS1_PfEviiT2_lT3_lllS4_lllS3_lT4_llli,comdat
	.globl	_ZL19rocblas_sbmv_kernelILb1ELi64ELi16EPKfS1_PfEviiT2_lT3_lllS4_lllS3_lT4_llli ; -- Begin function _ZL19rocblas_sbmv_kernelILb1ELi64ELi16EPKfS1_PfEviiT2_lT3_lllS4_lllS3_lT4_llli
	.p2align	8
	.type	_ZL19rocblas_sbmv_kernelILb1ELi64ELi16EPKfS1_PfEviiT2_lT3_lllS4_lllS3_lT4_llli,@function
_ZL19rocblas_sbmv_kernelILb1ELi64ELi16EPKfS1_PfEviiT2_lT3_lllS4_lllS3_lT4_llli: ; @_ZL19rocblas_sbmv_kernelILb1ELi64ELi16EPKfS1_PfEviiT2_lT3_lllS4_lllS3_lT4_llli
; %bb.0:
	s_load_dwordx2 s[0:1], s[4:5], 0x9c
	s_waitcnt lgkmcnt(0)
	s_lshr_b32 s2, s0, 16
	s_and_b32 s0, s0, 0xffff
	s_and_b32 s1, s1, 0xffff
	s_mul_i32 s2, s2, s0
	s_mul_i32 s2, s2, s1
	s_cmpk_lg_i32 s2, 0x400
	s_cbranch_scc1 .LBB0_30
; %bb.1:
	s_load_dwordx16 s[36:51], s[4:5], 0x8
	s_load_dwordx16 s[8:23], s[4:5], 0x48
	s_waitcnt lgkmcnt(0)
	s_mul_i32 s1, s39, s7
	s_mul_hi_u32 s3, s38, s7
	s_mul_i32 s2, s38, s7
	s_add_i32 s3, s3, s1
	s_lshl_b64 s[2:3], s[2:3], 2
	s_add_u32 s2, s36, s2
	s_mul_i32 s15, s15, s7
	s_addc_u32 s3, s37, s3
	s_mul_hi_u32 s1, s14, s7
	s_load_dword s29, s[2:3], 0x0
	s_add_i32 s3, s1, s15
	s_mul_i32 s2, s14, s7
	s_lshl_b64 s[2:3], s[2:3], 2
	s_add_u32 s2, s12, s2
	s_addc_u32 s3, s13, s3
	s_load_dword s28, s[2:3], 0x0
	s_waitcnt lgkmcnt(0)
	v_cmp_eq_f32_e64 s[2:3], s29, 0
	v_cmp_eq_f32_e64 s[12:13], s28, 1.0
	s_and_b64 s[2:3], s[2:3], s[12:13]
	s_and_b64 vcc, exec, s[2:3]
	s_cbranch_vccnz .LBB0_30
; %bb.2:
	s_mul_i32 s1, s23, s7
	s_mul_hi_u32 s2, s22, s7
	s_add_i32 s3, s2, s1
	s_mul_i32 s2, s22, s7
	s_load_dwordx2 s[4:5], s[4:5], 0x0
	s_lshl_b64 s[2:3], s[2:3], 2
	s_add_u32 s1, s16, s2
	s_addc_u32 s12, s17, s3
	s_lshl_b64 s[2:3], s[18:19], 2
	s_add_u32 s26, s1, s2
	v_mad_u32_u24 v12, v1, s0, v0
	v_cmp_neq_f32_e64 s[0:1], s29, 0
	s_addc_u32 s27, s12, s3
	s_and_b64 vcc, exec, s[0:1]
	v_cmp_gt_u32_e64 s[0:1], 64, v12
	s_cbranch_vccnz .LBB0_7
; %bb.3:
	v_lshl_add_u32 v3, s6, 6, v12
	s_waitcnt lgkmcnt(0)
	v_cmp_gt_i32_e32 vcc, s4, v3
	s_and_b64 s[14:15], s[0:1], vcc
	s_mov_b64 s[0:1], 0
	s_mov_b64 s[2:3], 0
                                        ; implicit-def: $vgpr2
                                        ; implicit-def: $vgpr0_vgpr1
	s_and_saveexec_b64 s[12:13], s[14:15]
	s_cbranch_execz .LBB0_8
; %bb.4:
	v_ashrrev_i32_e32 v0, 31, v3
	v_mul_lo_u32 v4, s21, v3
	v_mul_lo_u32 v5, s20, v0
	v_mad_u64_u32 v[0:1], s[2:3], s20, v3, 0
	v_cmp_eq_f32_e64 s[2:3], s28, 0
	v_mov_b32_e32 v2, 0
	v_add3_u32 v1, v1, v5, v4
	s_and_b64 vcc, exec, s[2:3]
	s_cbranch_vccnz .LBB0_6
; %bb.5:
	v_lshlrev_b64 v[2:3], 2, v[0:1]
	v_mov_b32_e32 v4, s27
	v_add_co_u32_e32 v2, vcc, s26, v2
	v_addc_co_u32_e32 v3, vcc, v4, v3, vcc
	global_load_dword v2, v[2:3], off
	s_waitcnt vmcnt(0)
	v_mul_f32_e32 v2, s28, v2
.LBB0_6:
	s_mov_b64 s[2:3], exec
	s_or_b64 exec, exec, s[12:13]
	s_and_b64 vcc, exec, s[0:1]
	s_cbranch_vccnz .LBB0_9
	s_branch .LBB0_28
.LBB0_7:
	s_mov_b64 s[2:3], 0
                                        ; implicit-def: $vgpr2
                                        ; implicit-def: $vgpr0_vgpr1
	s_cbranch_execnz .LBB0_9
	s_branch .LBB0_28
.LBB0_8:
	s_or_b64 exec, exec, s[12:13]
	s_and_b64 vcc, exec, s[0:1]
	s_cbranch_vccz .LBB0_28
.LBB0_9:
	v_lshrrev_b32_e32 v0, 6, v12
	s_lshl_b32 s30, s6, 6
	s_waitcnt lgkmcnt(0)
	v_cmp_gt_i32_e32 vcc, s4, v0
	v_mov_b32_e32 v16, 0
	s_and_saveexec_b64 s[12:13], vcc
	s_cbranch_execz .LBB0_23
; %bb.10:
	s_mul_i32 s0, s47, s7
	s_mul_hi_u32 s1, s46, s7
	s_add_i32 s1, s1, s0
	s_mul_i32 s0, s46, s7
	s_lshl_b64 s[14:15], s[0:1], 2
	s_add_u32 s0, s40, s14
	s_addc_u32 s1, s41, s15
	s_lshl_b64 s[16:17], s[42:43], 2
	s_add_u32 s6, s0, s16
	s_addc_u32 s18, s1, s17
	s_mul_i32 s0, s11, s7
	s_mul_hi_u32 s1, s10, s7
	s_add_i32 s1, s1, s0
	s_mul_i32 s0, s10, s7
	s_lshl_b64 s[0:1], s[0:1], 2
	s_add_u32 s7, s48, s0
	v_and_b32_e32 v7, 63, v12
	s_addc_u32 s10, s49, s1
	s_lshl_b64 s[0:1], s[50:51], 2
	v_or_b32_e32 v13, s30, v7
	s_add_u32 s31, s7, s0
	s_addc_u32 s33, s10, s1
	v_mul_lo_u32 v3, s45, v13
	v_mad_u64_u32 v[1:2], s[0:1], s44, v13, 0
	v_mad_u64_u32 v[4:5], s[0:1], s44, v0, 0
	s_ashr_i32 s7, s30, 31
	s_mul_i32 s7, s44, s7
	v_add3_u32 v2, v2, s7, v3
	v_lshlrev_b64 v[1:2], 2, v[1:2]
	v_mov_b32_e32 v3, v5
	v_mad_u64_u32 v[5:6], s[0:1], s45, v0, v[3:4]
	v_mov_b32_e32 v8, s18
	v_add_co_u32_e64 v14, s[0:1], s6, v1
	v_addc_co_u32_e64 v15, s[0:1], v8, v2, s[0:1]
	s_add_u32 s0, s40, s16
	s_addc_u32 s1, s41, s17
	v_lshlrev_b64 v[4:5], 2, v[4:5]
	s_add_u32 s0, s0, s14
	s_addc_u32 s1, s1, s15
	v_mov_b32_e32 v2, s1
	v_add_co_u32_e64 v17, s[0:1], s0, v4
	v_mov_b32_e32 v3, 0
	v_addc_co_u32_e64 v18, s[0:1], v2, v5, s[0:1]
	v_mov_b32_e32 v1, v3
	s_add_i32 s0, s5, s30
	v_sub_u32_e32 v4, s5, v7
	s_lshl_b64 s[6:7], s[44:45], 6
	v_add_u32_e32 v2, s0, v7
	v_subrev_u32_e32 v19, s30, v4
	v_mov_b32_e32 v5, v1
	v_cmp_gt_i32_e32 vcc, s4, v13
	v_sub_u32_e32 v2, v2, v0
	s_mov_b64 s[10:11], 0
	v_mov_b32_e32 v20, s7
	v_mov_b32_e32 v4, v0
	v_mov_b32_e32 v16, v3
	s_branch .LBB0_13
.LBB0_11:                               ;   in Loop: Header=BB0_13 Depth=1
	s_or_b64 exec, exec, s[18:19]
.LBB0_12:                               ;   in Loop: Header=BB0_13 Depth=1
	s_or_b64 exec, exec, s[14:15]
	v_add_co_u32_e64 v4, s[0:1], 16, v4
	v_addc_co_u32_e64 v5, s[0:1], 0, v5, s[0:1]
	v_add_co_u32_e64 v17, s[0:1], s6, v17
	v_addc_co_u32_e64 v18, s[0:1], v18, v20, s[0:1]
	v_cmp_le_i32_e64 s[0:1], s4, v4
	v_add_u32_e32 v0, 16, v0
	s_or_b64 s[10:11], s[0:1], s[10:11]
	v_add_u32_e32 v2, -16, v2
	s_andn2_b64 exec, exec, s[10:11]
	s_cbranch_execz .LBB0_22
.LBB0_13:                               ; =>This Inner Loop Header: Depth=1
	s_and_saveexec_b64 s[14:15], vcc
	s_cbranch_execz .LBB0_12
; %bb.14:                               ;   in Loop: Header=BB0_13 Depth=1
	v_cmp_le_i32_e64 s[0:1], v13, v4
	s_mov_b64 s[16:17], 0
                                        ; implicit-def: $vgpr6_vgpr7
	s_and_saveexec_b64 s[18:19], s[0:1]
	s_xor_b64 s[18:19], exec, s[18:19]
; %bb.15:                               ;   in Loop: Header=BB0_13 Depth=1
	v_lshlrev_b64 v[6:7], 2, v[2:3]
	v_add_co_u32_e64 v6, s[0:1], v17, v6
	v_addc_co_u32_e64 v7, s[0:1], v18, v7, s[0:1]
	v_cmp_lt_i32_e64 s[0:1], -1, v2
	s_and_b64 s[16:17], s[0:1], exec
; %bb.16:                               ;   in Loop: Header=BB0_13 Depth=1
	s_or_saveexec_b64 s[18:19], s[18:19]
	v_mov_b32_e32 v9, v5
	v_mov_b32_e32 v8, v4
	s_xor_b64 exec, exec, s[18:19]
	s_cbranch_execz .LBB0_20
; %bb.17:                               ;   in Loop: Header=BB0_13 Depth=1
	v_add_u32_e32 v10, v19, v4
	v_cmp_lt_i32_e64 s[0:1], -1, v10
	s_mov_b64 s[24:25], s[16:17]
                                        ; implicit-def: $vgpr6_vgpr7
                                        ; implicit-def: $vgpr8_vgpr9
	s_and_saveexec_b64 s[22:23], s[0:1]
; %bb.18:                               ;   in Loop: Header=BB0_13 Depth=1
	v_mov_b32_e32 v11, v3
	v_lshlrev_b64 v[6:7], 2, v[10:11]
	v_mov_b32_e32 v1, v3
	v_add_co_u32_e64 v6, s[0:1], v14, v6
	v_mov_b32_e32 v9, v1
	v_addc_co_u32_e64 v7, s[0:1], v15, v7, s[0:1]
	s_or_b64 s[24:25], s[16:17], exec
	v_mov_b32_e32 v8, v0
; %bb.19:                               ;   in Loop: Header=BB0_13 Depth=1
	s_or_b64 exec, exec, s[22:23]
	s_andn2_b64 s[0:1], s[16:17], exec
	s_and_b64 s[16:17], s[24:25], exec
	s_or_b64 s[16:17], s[0:1], s[16:17]
.LBB0_20:                               ;   in Loop: Header=BB0_13 Depth=1
	s_or_b64 exec, exec, s[18:19]
	s_and_saveexec_b64 s[18:19], s[16:17]
	s_cbranch_execz .LBB0_11
; %bb.21:                               ;   in Loop: Header=BB0_13 Depth=1
	v_mul_lo_u32 v1, v9, s8
	v_mul_lo_u32 v10, v8, s9
	v_mad_u64_u32 v[8:9], s[0:1], v8, s8, 0
	global_load_dword v11, v[6:7], off
	v_add3_u32 v9, v9, v10, v1
	v_lshlrev_b64 v[6:7], 2, v[8:9]
	v_mov_b32_e32 v1, s33
	v_add_co_u32_e64 v6, s[0:1], s31, v6
	v_addc_co_u32_e64 v7, s[0:1], v1, v7, s[0:1]
	global_load_dword v1, v[6:7], off
	s_waitcnt vmcnt(0)
	v_fmac_f32_e32 v16, v11, v1
	s_branch .LBB0_11
.LBB0_22:
	s_or_b64 exec, exec, s[10:11]
.LBB0_23:
	s_or_b64 exec, exec, s[12:13]
	v_add_u32_e32 v4, s30, v12
	v_cmp_gt_u32_e32 vcc, 64, v12
	v_cmp_gt_i32_e64 s[0:1], s4, v4
	v_lshlrev_b32_e32 v3, 2, v12
	s_and_b64 s[4:5], vcc, s[0:1]
	ds_write_b32 v3, v16
	s_waitcnt lgkmcnt(0)
	s_barrier
                                        ; implicit-def: $vgpr2
                                        ; implicit-def: $vgpr0_vgpr1
	s_and_saveexec_b64 s[0:1], s[4:5]
	s_cbranch_execz .LBB0_27
; %bb.24:
	ds_read2st64_b32 v[0:1], v3 offset1:1
	ds_read2st64_b32 v[5:6], v3 offset0:2 offset1:3
	ds_read2st64_b32 v[7:8], v3 offset0:4 offset1:5
	;; [unrolled: 1-line block ×4, first 2 shown]
	s_waitcnt lgkmcnt(4)
	v_add_f32_e32 v0, v0, v1
	s_waitcnt lgkmcnt(3)
	v_add_f32_e32 v0, v5, v0
	v_add_f32_e32 v0, v6, v0
	s_waitcnt lgkmcnt(2)
	v_add_f32_e32 v0, v7, v0
	;; [unrolled: 3-line block ×3, first 2 shown]
	v_add_f32_e32 v2, v10, v0
	ds_read2st64_b32 v[0:1], v3 offset0:10 offset1:11
	ds_read2st64_b32 v[5:6], v3 offset0:12 offset1:13
	;; [unrolled: 1-line block ×3, first 2 shown]
	s_waitcnt lgkmcnt(3)
	v_add_f32_e32 v2, v11, v2
	v_add_f32_e32 v2, v12, v2
	s_waitcnt lgkmcnt(2)
	v_add_f32_e32 v0, v0, v2
	v_add_f32_e32 v0, v1, v0
	;; [unrolled: 3-line block ×4, first 2 shown]
	v_ashrrev_i32_e32 v0, 31, v4
	v_mul_lo_u32 v5, s21, v4
	v_mul_lo_u32 v6, s20, v0
	v_mad_u64_u32 v[0:1], s[4:5], s20, v4, 0
	v_cmp_eq_f32_e64 s[4:5], s28, 0
	ds_write_b32 v3, v2
	v_mul_f32_e32 v2, s29, v2
	v_add3_u32 v1, v1, v6, v5
	s_and_b64 vcc, exec, s[4:5]
	s_cbranch_vccnz .LBB0_26
; %bb.25:
	v_lshlrev_b64 v[3:4], 2, v[0:1]
	v_mov_b32_e32 v5, s27
	v_add_co_u32_e32 v3, vcc, s26, v3
	v_addc_co_u32_e32 v4, vcc, v5, v4, vcc
	global_load_dword v3, v[3:4], off
	s_waitcnt vmcnt(0)
	v_fmac_f32_e32 v2, s28, v3
.LBB0_26:
	s_or_b64 s[2:3], s[2:3], exec
.LBB0_27:
	s_or_b64 exec, exec, s[0:1]
.LBB0_28:
	s_and_saveexec_b64 s[0:1], s[2:3]
	s_cbranch_execz .LBB0_30
; %bb.29:
	v_lshlrev_b64 v[0:1], 2, v[0:1]
	v_mov_b32_e32 v3, s27
	v_add_co_u32_e32 v0, vcc, s26, v0
	v_addc_co_u32_e32 v1, vcc, v3, v1, vcc
	global_store_dword v[0:1], v2, off
.LBB0_30:
	s_endpgm
	.section	.rodata,"a",@progbits
	.p2align	6, 0x0
	.amdhsa_kernel _ZL19rocblas_sbmv_kernelILb1ELi64ELi16EPKfS1_PfEviiT2_lT3_lllS4_lllS3_lT4_llli
		.amdhsa_group_segment_fixed_size 4096
		.amdhsa_private_segment_fixed_size 0
		.amdhsa_kernarg_size 400
		.amdhsa_user_sgpr_count 6
		.amdhsa_user_sgpr_private_segment_buffer 1
		.amdhsa_user_sgpr_dispatch_ptr 0
		.amdhsa_user_sgpr_queue_ptr 0
		.amdhsa_user_sgpr_kernarg_segment_ptr 1
		.amdhsa_user_sgpr_dispatch_id 0
		.amdhsa_user_sgpr_flat_scratch_init 0
		.amdhsa_user_sgpr_private_segment_size 0
		.amdhsa_uses_dynamic_stack 0
		.amdhsa_system_sgpr_private_segment_wavefront_offset 0
		.amdhsa_system_sgpr_workgroup_id_x 1
		.amdhsa_system_sgpr_workgroup_id_y 0
		.amdhsa_system_sgpr_workgroup_id_z 1
		.amdhsa_system_sgpr_workgroup_info 0
		.amdhsa_system_vgpr_workitem_id 1
		.amdhsa_next_free_vgpr 29
		.amdhsa_next_free_sgpr 61
		.amdhsa_reserve_vcc 1
		.amdhsa_reserve_flat_scratch 0
		.amdhsa_float_round_mode_32 0
		.amdhsa_float_round_mode_16_64 0
		.amdhsa_float_denorm_mode_32 3
		.amdhsa_float_denorm_mode_16_64 3
		.amdhsa_dx10_clamp 1
		.amdhsa_ieee_mode 1
		.amdhsa_fp16_overflow 0
		.amdhsa_exception_fp_ieee_invalid_op 0
		.amdhsa_exception_fp_denorm_src 0
		.amdhsa_exception_fp_ieee_div_zero 0
		.amdhsa_exception_fp_ieee_overflow 0
		.amdhsa_exception_fp_ieee_underflow 0
		.amdhsa_exception_fp_ieee_inexact 0
		.amdhsa_exception_int_div_zero 0
	.end_amdhsa_kernel
	.section	.text._ZL19rocblas_sbmv_kernelILb1ELi64ELi16EPKfS1_PfEviiT2_lT3_lllS4_lllS3_lT4_llli,"axG",@progbits,_ZL19rocblas_sbmv_kernelILb1ELi64ELi16EPKfS1_PfEviiT2_lT3_lllS4_lllS3_lT4_llli,comdat
.Lfunc_end0:
	.size	_ZL19rocblas_sbmv_kernelILb1ELi64ELi16EPKfS1_PfEviiT2_lT3_lllS4_lllS3_lT4_llli, .Lfunc_end0-_ZL19rocblas_sbmv_kernelILb1ELi64ELi16EPKfS1_PfEviiT2_lT3_lllS4_lllS3_lT4_llli
                                        ; -- End function
	.set _ZL19rocblas_sbmv_kernelILb1ELi64ELi16EPKfS1_PfEviiT2_lT3_lllS4_lllS3_lT4_llli.num_vgpr, 21
	.set _ZL19rocblas_sbmv_kernelILb1ELi64ELi16EPKfS1_PfEviiT2_lT3_lllS4_lllS3_lT4_llli.num_agpr, 0
	.set _ZL19rocblas_sbmv_kernelILb1ELi64ELi16EPKfS1_PfEviiT2_lT3_lllS4_lllS3_lT4_llli.numbered_sgpr, 52
	.set _ZL19rocblas_sbmv_kernelILb1ELi64ELi16EPKfS1_PfEviiT2_lT3_lllS4_lllS3_lT4_llli.num_named_barrier, 0
	.set _ZL19rocblas_sbmv_kernelILb1ELi64ELi16EPKfS1_PfEviiT2_lT3_lllS4_lllS3_lT4_llli.private_seg_size, 0
	.set _ZL19rocblas_sbmv_kernelILb1ELi64ELi16EPKfS1_PfEviiT2_lT3_lllS4_lllS3_lT4_llli.uses_vcc, 1
	.set _ZL19rocblas_sbmv_kernelILb1ELi64ELi16EPKfS1_PfEviiT2_lT3_lllS4_lllS3_lT4_llli.uses_flat_scratch, 0
	.set _ZL19rocblas_sbmv_kernelILb1ELi64ELi16EPKfS1_PfEviiT2_lT3_lllS4_lllS3_lT4_llli.has_dyn_sized_stack, 0
	.set _ZL19rocblas_sbmv_kernelILb1ELi64ELi16EPKfS1_PfEviiT2_lT3_lllS4_lllS3_lT4_llli.has_recursion, 0
	.set _ZL19rocblas_sbmv_kernelILb1ELi64ELi16EPKfS1_PfEviiT2_lT3_lllS4_lllS3_lT4_llli.has_indirect_call, 0
	.section	.AMDGPU.csdata,"",@progbits
; Kernel info:
; codeLenInByte = 1416
; TotalNumSgprs: 56
; NumVgprs: 21
; ScratchSize: 0
; MemoryBound: 0
; FloatMode: 240
; IeeeMode: 1
; LDSByteSize: 4096 bytes/workgroup (compile time only)
; SGPRBlocks: 8
; VGPRBlocks: 7
; NumSGPRsForWavesPerEU: 65
; NumVGPRsForWavesPerEU: 29
; Occupancy: 8
; WaveLimiterHint : 0
; COMPUTE_PGM_RSRC2:SCRATCH_EN: 0
; COMPUTE_PGM_RSRC2:USER_SGPR: 6
; COMPUTE_PGM_RSRC2:TRAP_HANDLER: 0
; COMPUTE_PGM_RSRC2:TGID_X_EN: 1
; COMPUTE_PGM_RSRC2:TGID_Y_EN: 0
; COMPUTE_PGM_RSRC2:TGID_Z_EN: 1
; COMPUTE_PGM_RSRC2:TIDIG_COMP_CNT: 1
	.section	.text._ZL19rocblas_sbmv_kernelILb0ELi64ELi16EPKfS1_PfEviiT2_lT3_lllS4_lllS3_lT4_llli,"axG",@progbits,_ZL19rocblas_sbmv_kernelILb0ELi64ELi16EPKfS1_PfEviiT2_lT3_lllS4_lllS3_lT4_llli,comdat
	.globl	_ZL19rocblas_sbmv_kernelILb0ELi64ELi16EPKfS1_PfEviiT2_lT3_lllS4_lllS3_lT4_llli ; -- Begin function _ZL19rocblas_sbmv_kernelILb0ELi64ELi16EPKfS1_PfEviiT2_lT3_lllS4_lllS3_lT4_llli
	.p2align	8
	.type	_ZL19rocblas_sbmv_kernelILb0ELi64ELi16EPKfS1_PfEviiT2_lT3_lllS4_lllS3_lT4_llli,@function
_ZL19rocblas_sbmv_kernelILb0ELi64ELi16EPKfS1_PfEviiT2_lT3_lllS4_lllS3_lT4_llli: ; @_ZL19rocblas_sbmv_kernelILb0ELi64ELi16EPKfS1_PfEviiT2_lT3_lllS4_lllS3_lT4_llli
; %bb.0:
	s_load_dwordx2 s[0:1], s[4:5], 0x9c
	s_waitcnt lgkmcnt(0)
	s_lshr_b32 s2, s0, 16
	s_and_b32 s0, s0, 0xffff
	s_and_b32 s1, s1, 0xffff
	s_mul_i32 s2, s2, s0
	s_mul_i32 s2, s2, s1
	s_cmpk_lg_i32 s2, 0x400
	s_cbranch_scc1 .LBB1_30
; %bb.1:
	s_load_dwordx16 s[36:51], s[4:5], 0x8
	s_load_dwordx16 s[8:23], s[4:5], 0x48
	s_waitcnt lgkmcnt(0)
	s_mul_i32 s1, s39, s7
	s_mul_hi_u32 s3, s38, s7
	s_mul_i32 s2, s38, s7
	s_add_i32 s3, s3, s1
	s_lshl_b64 s[2:3], s[2:3], 2
	s_add_u32 s2, s36, s2
	s_mul_i32 s15, s15, s7
	s_addc_u32 s3, s37, s3
	s_mul_hi_u32 s1, s14, s7
	s_load_dword s27, s[2:3], 0x0
	s_add_i32 s3, s1, s15
	s_mul_i32 s2, s14, s7
	s_lshl_b64 s[2:3], s[2:3], 2
	s_add_u32 s2, s12, s2
	s_addc_u32 s3, s13, s3
	s_load_dword s26, s[2:3], 0x0
	s_waitcnt lgkmcnt(0)
	v_cmp_eq_f32_e64 s[2:3], s27, 0
	v_cmp_eq_f32_e64 s[12:13], s26, 1.0
	s_and_b64 s[2:3], s[2:3], s[12:13]
	s_and_b64 vcc, exec, s[2:3]
	s_cbranch_vccnz .LBB1_30
; %bb.2:
	s_mul_i32 s1, s23, s7
	s_mul_hi_u32 s2, s22, s7
	s_add_i32 s3, s2, s1
	s_mul_i32 s2, s22, s7
	s_load_dwordx2 s[4:5], s[4:5], 0x0
	s_lshl_b64 s[2:3], s[2:3], 2
	s_add_u32 s1, s16, s2
	s_addc_u32 s12, s17, s3
	s_lshl_b64 s[2:3], s[18:19], 2
	s_add_u32 s24, s1, s2
	v_mad_u32_u24 v10, v1, s0, v0
	v_cmp_neq_f32_e64 s[0:1], s27, 0
	s_addc_u32 s25, s12, s3
	s_and_b64 vcc, exec, s[0:1]
	v_cmp_gt_u32_e64 s[0:1], 64, v10
	s_cbranch_vccnz .LBB1_7
; %bb.3:
	v_lshl_add_u32 v3, s6, 6, v10
	s_waitcnt lgkmcnt(0)
	v_cmp_gt_i32_e32 vcc, s4, v3
	s_and_b64 s[14:15], s[0:1], vcc
	s_mov_b64 s[0:1], 0
	s_mov_b64 s[2:3], 0
                                        ; implicit-def: $vgpr2
                                        ; implicit-def: $vgpr0_vgpr1
	s_and_saveexec_b64 s[12:13], s[14:15]
	s_cbranch_execz .LBB1_8
; %bb.4:
	v_ashrrev_i32_e32 v0, 31, v3
	v_mul_lo_u32 v4, s21, v3
	v_mul_lo_u32 v5, s20, v0
	v_mad_u64_u32 v[0:1], s[2:3], s20, v3, 0
	v_cmp_eq_f32_e64 s[2:3], s26, 0
	v_mov_b32_e32 v2, 0
	v_add3_u32 v1, v1, v5, v4
	s_and_b64 vcc, exec, s[2:3]
	s_cbranch_vccnz .LBB1_6
; %bb.5:
	v_lshlrev_b64 v[2:3], 2, v[0:1]
	v_mov_b32_e32 v4, s25
	v_add_co_u32_e32 v2, vcc, s24, v2
	v_addc_co_u32_e32 v3, vcc, v4, v3, vcc
	global_load_dword v2, v[2:3], off
	s_waitcnt vmcnt(0)
	v_mul_f32_e32 v2, s26, v2
.LBB1_6:
	s_mov_b64 s[2:3], exec
	s_or_b64 exec, exec, s[12:13]
	s_and_b64 vcc, exec, s[0:1]
	s_cbranch_vccnz .LBB1_9
	s_branch .LBB1_28
.LBB1_7:
	s_mov_b64 s[2:3], 0
                                        ; implicit-def: $vgpr2
                                        ; implicit-def: $vgpr0_vgpr1
	s_cbranch_execnz .LBB1_9
	s_branch .LBB1_28
.LBB1_8:
	s_or_b64 exec, exec, s[12:13]
	s_and_b64 vcc, exec, s[0:1]
	s_cbranch_vccz .LBB1_28
.LBB1_9:
	v_lshrrev_b32_e32 v0, 6, v10
	s_lshl_b32 s28, s6, 6
	s_waitcnt lgkmcnt(0)
	v_cmp_gt_i32_e32 vcc, s4, v0
	v_mov_b32_e32 v14, 0
	s_and_saveexec_b64 s[12:13], vcc
	s_cbranch_execz .LBB1_23
; %bb.10:
	s_mul_i32 s0, s47, s7
	s_mul_hi_u32 s1, s46, s7
	s_add_i32 s1, s1, s0
	s_mul_i32 s0, s46, s7
	s_lshl_b64 s[0:1], s[0:1], 2
	s_add_u32 s6, s40, s0
	s_addc_u32 s16, s41, s1
	s_lshl_b64 s[14:15], s[42:43], 2
	s_add_u32 s17, s6, s14
	s_mul_i32 s6, s11, s7
	s_mul_hi_u32 s11, s10, s7
	s_addc_u32 s16, s16, s15
	s_add_i32 s11, s11, s6
	s_mul_i32 s10, s10, s7
	s_lshl_b64 s[6:7], s[10:11], 2
	s_add_u32 s10, s48, s6
	v_and_b32_e32 v6, 63, v10
	s_addc_u32 s11, s49, s7
	s_lshl_b64 s[6:7], s[50:51], 2
	v_or_b32_e32 v11, s28, v6
	s_add_u32 s29, s10, s6
	s_addc_u32 s30, s11, s7
	v_mul_lo_u32 v3, s45, v11
	v_mad_u64_u32 v[1:2], s[6:7], s44, v11, 0
	s_ashr_i32 s6, s28, 31
	s_mul_i32 s6, s44, s6
	v_add3_u32 v2, v2, s6, v3
	s_lshl_b64 s[6:7], s[44:45], 2
	s_add_u32 s6, s6, -4
	s_addc_u32 s7, s7, -1
	s_add_u32 s0, s14, s0
	s_addc_u32 s1, s15, s1
	v_mov_b32_e32 v4, s1
	v_mov_b32_e32 v3, s0
	v_mad_u64_u32 v[3:4], s[0:1], v0, s6, v[3:4]
	v_lshlrev_b64 v[1:2], 2, v[1:2]
	v_mov_b32_e32 v5, s16
	v_add_co_u32_e64 v12, s[0:1], s17, v1
	v_addc_co_u32_e64 v13, s[0:1], v5, v2, s[0:1]
	v_mov_b32_e32 v2, v4
	v_mad_u64_u32 v[4:5], s[0:1], v0, s7, v[2:3]
	v_add_u32_e32 v5, s28, v6
	v_ashrrev_i32_e32 v6, 31, v5
	v_lshlrev_b64 v[6:7], 2, v[5:6]
	v_mov_b32_e32 v1, 0
	v_add_co_u32_e64 v2, s[0:1], v3, v6
	v_addc_co_u32_e64 v3, s[0:1], v4, v7, s[0:1]
	v_mov_b32_e32 v4, s41
	v_add_co_u32_e64 v2, s[0:1], s40, v2
	v_addc_co_u32_e64 v3, s[0:1], v4, v3, s[0:1]
	s_lshl_b64 s[0:1], s[44:45], 6
	s_add_u32 s31, s0, 0xffffffc0
	s_addc_u32 s0, s1, -1
	v_sub_u32_e32 v15, 0, v5
	v_sub_u32_e32 v16, v5, v0
	v_mov_b32_e32 v5, v1
	v_cmp_gt_i32_e32 vcc, s4, v11
	s_mov_b64 s[6:7], 0
	v_mov_b32_e32 v17, s0
	v_mov_b32_e32 v4, v0
	v_mov_b32_e32 v14, 0
	s_branch .LBB1_13
.LBB1_11:                               ;   in Loop: Header=BB1_13 Depth=1
	s_or_b64 exec, exec, s[16:17]
.LBB1_12:                               ;   in Loop: Header=BB1_13 Depth=1
	s_or_b64 exec, exec, s[10:11]
	v_add_co_u32_e64 v4, s[0:1], 16, v4
	v_addc_co_u32_e64 v5, s[0:1], 0, v5, s[0:1]
	v_add_co_u32_e64 v2, s[0:1], s31, v2
	v_addc_co_u32_e64 v3, s[0:1], v3, v17, s[0:1]
	v_cmp_le_i32_e64 s[0:1], s4, v4
	v_add_u32_e32 v0, 16, v0
	s_or_b64 s[6:7], s[0:1], s[6:7]
	v_add_u32_e32 v16, -16, v16
	s_andn2_b64 exec, exec, s[6:7]
	s_cbranch_execz .LBB1_22
.LBB1_13:                               ; =>This Inner Loop Header: Depth=1
	s_and_saveexec_b64 s[10:11], vcc
	s_cbranch_execz .LBB1_12
; %bb.14:                               ;   in Loop: Header=BB1_13 Depth=1
	v_cmp_ge_i32_e64 s[0:1], v11, v4
	s_mov_b64 s[14:15], 0
	s_and_saveexec_b64 s[16:17], s[0:1]
	s_xor_b64 s[16:17], exec, s[16:17]
; %bb.15:                               ;   in Loop: Header=BB1_13 Depth=1
	v_cmp_ge_i32_e64 s[0:1], s5, v16
	s_and_b64 s[14:15], s[0:1], exec
; %bb.16:                               ;   in Loop: Header=BB1_13 Depth=1
	s_or_saveexec_b64 s[16:17], s[16:17]
	v_mov_b32_e32 v7, v3
	v_mov_b32_e32 v9, v5
	;; [unrolled: 1-line block ×4, first 2 shown]
	s_xor_b64 exec, exec, s[16:17]
	s_cbranch_execz .LBB1_20
; %bb.17:                               ;   in Loop: Header=BB1_13 Depth=1
	v_add_u32_e32 v6, v15, v4
	v_cmp_ge_i32_e64 s[0:1], s5, v6
	s_mov_b64 s[22:23], s[14:15]
                                        ; implicit-def: $vgpr6_vgpr7
                                        ; implicit-def: $vgpr8_vgpr9
	s_and_saveexec_b64 s[18:19], s[0:1]
; %bb.18:                               ;   in Loop: Header=BB1_13 Depth=1
	v_sub_u32_e32 v6, v0, v11
	v_ashrrev_i32_e32 v7, 31, v6
	v_lshlrev_b64 v[6:7], 2, v[6:7]
	v_mov_b32_e32 v9, v1
	v_add_co_u32_e64 v6, s[0:1], v12, v6
	v_addc_co_u32_e64 v7, s[0:1], v13, v7, s[0:1]
	s_or_b64 s[22:23], s[14:15], exec
	v_mov_b32_e32 v8, v0
; %bb.19:                               ;   in Loop: Header=BB1_13 Depth=1
	s_or_b64 exec, exec, s[18:19]
	s_andn2_b64 s[0:1], s[14:15], exec
	s_and_b64 s[14:15], s[22:23], exec
	s_or_b64 s[14:15], s[0:1], s[14:15]
.LBB1_20:                               ;   in Loop: Header=BB1_13 Depth=1
	s_or_b64 exec, exec, s[16:17]
	s_and_saveexec_b64 s[16:17], s[14:15]
	s_cbranch_execz .LBB1_11
; %bb.21:                               ;   in Loop: Header=BB1_13 Depth=1
	v_mul_lo_u32 v18, v9, s8
	v_mul_lo_u32 v19, v8, s9
	v_mad_u64_u32 v[8:9], s[0:1], v8, s8, 0
	global_load_dword v20, v[6:7], off
	v_add3_u32 v9, v9, v19, v18
	v_lshlrev_b64 v[6:7], 2, v[8:9]
	v_mov_b32_e32 v8, s30
	v_add_co_u32_e64 v6, s[0:1], s29, v6
	v_addc_co_u32_e64 v7, s[0:1], v8, v7, s[0:1]
	global_load_dword v6, v[6:7], off
	s_waitcnt vmcnt(0)
	v_fmac_f32_e32 v14, v20, v6
	s_branch .LBB1_11
.LBB1_22:
	s_or_b64 exec, exec, s[6:7]
.LBB1_23:
	s_or_b64 exec, exec, s[12:13]
	v_add_u32_e32 v4, s28, v10
	v_cmp_gt_u32_e32 vcc, 64, v10
	v_cmp_gt_i32_e64 s[0:1], s4, v4
	v_lshlrev_b32_e32 v3, 2, v10
	s_and_b64 s[4:5], vcc, s[0:1]
	ds_write_b32 v3, v14
	s_waitcnt lgkmcnt(0)
	s_barrier
                                        ; implicit-def: $vgpr2
                                        ; implicit-def: $vgpr0_vgpr1
	s_and_saveexec_b64 s[0:1], s[4:5]
	s_cbranch_execz .LBB1_27
; %bb.24:
	ds_read2st64_b32 v[0:1], v3 offset1:1
	ds_read2st64_b32 v[5:6], v3 offset0:2 offset1:3
	ds_read2st64_b32 v[7:8], v3 offset0:4 offset1:5
	;; [unrolled: 1-line block ×4, first 2 shown]
	s_waitcnt lgkmcnt(4)
	v_add_f32_e32 v0, v0, v1
	s_waitcnt lgkmcnt(3)
	v_add_f32_e32 v0, v5, v0
	v_add_f32_e32 v0, v6, v0
	s_waitcnt lgkmcnt(2)
	v_add_f32_e32 v0, v7, v0
	v_add_f32_e32 v0, v8, v0
	s_waitcnt lgkmcnt(1)
	v_add_f32_e32 v0, v9, v0
	v_add_f32_e32 v2, v10, v0
	ds_read2st64_b32 v[0:1], v3 offset0:10 offset1:11
	ds_read2st64_b32 v[5:6], v3 offset0:12 offset1:13
	;; [unrolled: 1-line block ×3, first 2 shown]
	s_waitcnt lgkmcnt(3)
	v_add_f32_e32 v2, v11, v2
	v_add_f32_e32 v2, v12, v2
	s_waitcnt lgkmcnt(2)
	v_add_f32_e32 v0, v0, v2
	v_add_f32_e32 v0, v1, v0
	;; [unrolled: 3-line block ×4, first 2 shown]
	v_ashrrev_i32_e32 v0, 31, v4
	v_mul_lo_u32 v5, s21, v4
	v_mul_lo_u32 v6, s20, v0
	v_mad_u64_u32 v[0:1], s[4:5], s20, v4, 0
	v_cmp_eq_f32_e64 s[4:5], s26, 0
	ds_write_b32 v3, v2
	v_mul_f32_e32 v2, s27, v2
	v_add3_u32 v1, v1, v6, v5
	s_and_b64 vcc, exec, s[4:5]
	s_cbranch_vccnz .LBB1_26
; %bb.25:
	v_lshlrev_b64 v[3:4], 2, v[0:1]
	v_mov_b32_e32 v5, s25
	v_add_co_u32_e32 v3, vcc, s24, v3
	v_addc_co_u32_e32 v4, vcc, v5, v4, vcc
	global_load_dword v3, v[3:4], off
	s_waitcnt vmcnt(0)
	v_fmac_f32_e32 v2, s26, v3
.LBB1_26:
	s_or_b64 s[2:3], s[2:3], exec
.LBB1_27:
	s_or_b64 exec, exec, s[0:1]
.LBB1_28:
	s_and_saveexec_b64 s[0:1], s[2:3]
	s_cbranch_execz .LBB1_30
; %bb.29:
	v_lshlrev_b64 v[0:1], 2, v[0:1]
	v_mov_b32_e32 v3, s25
	v_add_co_u32_e32 v0, vcc, s24, v0
	v_addc_co_u32_e32 v1, vcc, v3, v1, vcc
	global_store_dword v[0:1], v2, off
.LBB1_30:
	s_endpgm
	.section	.rodata,"a",@progbits
	.p2align	6, 0x0
	.amdhsa_kernel _ZL19rocblas_sbmv_kernelILb0ELi64ELi16EPKfS1_PfEviiT2_lT3_lllS4_lllS3_lT4_llli
		.amdhsa_group_segment_fixed_size 4096
		.amdhsa_private_segment_fixed_size 0
		.amdhsa_kernarg_size 400
		.amdhsa_user_sgpr_count 6
		.amdhsa_user_sgpr_private_segment_buffer 1
		.amdhsa_user_sgpr_dispatch_ptr 0
		.amdhsa_user_sgpr_queue_ptr 0
		.amdhsa_user_sgpr_kernarg_segment_ptr 1
		.amdhsa_user_sgpr_dispatch_id 0
		.amdhsa_user_sgpr_flat_scratch_init 0
		.amdhsa_user_sgpr_private_segment_size 0
		.amdhsa_uses_dynamic_stack 0
		.amdhsa_system_sgpr_private_segment_wavefront_offset 0
		.amdhsa_system_sgpr_workgroup_id_x 1
		.amdhsa_system_sgpr_workgroup_id_y 0
		.amdhsa_system_sgpr_workgroup_id_z 1
		.amdhsa_system_sgpr_workgroup_info 0
		.amdhsa_system_vgpr_workitem_id 1
		.amdhsa_next_free_vgpr 29
		.amdhsa_next_free_sgpr 61
		.amdhsa_reserve_vcc 1
		.amdhsa_reserve_flat_scratch 0
		.amdhsa_float_round_mode_32 0
		.amdhsa_float_round_mode_16_64 0
		.amdhsa_float_denorm_mode_32 3
		.amdhsa_float_denorm_mode_16_64 3
		.amdhsa_dx10_clamp 1
		.amdhsa_ieee_mode 1
		.amdhsa_fp16_overflow 0
		.amdhsa_exception_fp_ieee_invalid_op 0
		.amdhsa_exception_fp_denorm_src 0
		.amdhsa_exception_fp_ieee_div_zero 0
		.amdhsa_exception_fp_ieee_overflow 0
		.amdhsa_exception_fp_ieee_underflow 0
		.amdhsa_exception_fp_ieee_inexact 0
		.amdhsa_exception_int_div_zero 0
	.end_amdhsa_kernel
	.section	.text._ZL19rocblas_sbmv_kernelILb0ELi64ELi16EPKfS1_PfEviiT2_lT3_lllS4_lllS3_lT4_llli,"axG",@progbits,_ZL19rocblas_sbmv_kernelILb0ELi64ELi16EPKfS1_PfEviiT2_lT3_lllS4_lllS3_lT4_llli,comdat
.Lfunc_end1:
	.size	_ZL19rocblas_sbmv_kernelILb0ELi64ELi16EPKfS1_PfEviiT2_lT3_lllS4_lllS3_lT4_llli, .Lfunc_end1-_ZL19rocblas_sbmv_kernelILb0ELi64ELi16EPKfS1_PfEviiT2_lT3_lllS4_lllS3_lT4_llli
                                        ; -- End function
	.set _ZL19rocblas_sbmv_kernelILb0ELi64ELi16EPKfS1_PfEviiT2_lT3_lllS4_lllS3_lT4_llli.num_vgpr, 21
	.set _ZL19rocblas_sbmv_kernelILb0ELi64ELi16EPKfS1_PfEviiT2_lT3_lllS4_lllS3_lT4_llli.num_agpr, 0
	.set _ZL19rocblas_sbmv_kernelILb0ELi64ELi16EPKfS1_PfEviiT2_lT3_lllS4_lllS3_lT4_llli.numbered_sgpr, 52
	.set _ZL19rocblas_sbmv_kernelILb0ELi64ELi16EPKfS1_PfEviiT2_lT3_lllS4_lllS3_lT4_llli.num_named_barrier, 0
	.set _ZL19rocblas_sbmv_kernelILb0ELi64ELi16EPKfS1_PfEviiT2_lT3_lllS4_lllS3_lT4_llli.private_seg_size, 0
	.set _ZL19rocblas_sbmv_kernelILb0ELi64ELi16EPKfS1_PfEviiT2_lT3_lllS4_lllS3_lT4_llli.uses_vcc, 1
	.set _ZL19rocblas_sbmv_kernelILb0ELi64ELi16EPKfS1_PfEviiT2_lT3_lllS4_lllS3_lT4_llli.uses_flat_scratch, 0
	.set _ZL19rocblas_sbmv_kernelILb0ELi64ELi16EPKfS1_PfEviiT2_lT3_lllS4_lllS3_lT4_llli.has_dyn_sized_stack, 0
	.set _ZL19rocblas_sbmv_kernelILb0ELi64ELi16EPKfS1_PfEviiT2_lT3_lllS4_lllS3_lT4_llli.has_recursion, 0
	.set _ZL19rocblas_sbmv_kernelILb0ELi64ELi16EPKfS1_PfEviiT2_lT3_lllS4_lllS3_lT4_llli.has_indirect_call, 0
	.section	.AMDGPU.csdata,"",@progbits
; Kernel info:
; codeLenInByte = 1432
; TotalNumSgprs: 56
; NumVgprs: 21
; ScratchSize: 0
; MemoryBound: 0
; FloatMode: 240
; IeeeMode: 1
; LDSByteSize: 4096 bytes/workgroup (compile time only)
; SGPRBlocks: 8
; VGPRBlocks: 7
; NumSGPRsForWavesPerEU: 65
; NumVGPRsForWavesPerEU: 29
; Occupancy: 8
; WaveLimiterHint : 0
; COMPUTE_PGM_RSRC2:SCRATCH_EN: 0
; COMPUTE_PGM_RSRC2:USER_SGPR: 6
; COMPUTE_PGM_RSRC2:TRAP_HANDLER: 0
; COMPUTE_PGM_RSRC2:TGID_X_EN: 1
; COMPUTE_PGM_RSRC2:TGID_Y_EN: 0
; COMPUTE_PGM_RSRC2:TGID_Z_EN: 1
; COMPUTE_PGM_RSRC2:TIDIG_COMP_CNT: 1
	.section	.text._ZL19rocblas_sbmv_kernelILb1ELi64ELi16EfPKfPfEviiT2_lT3_lllS4_lllS3_lT4_llli,"axG",@progbits,_ZL19rocblas_sbmv_kernelILb1ELi64ELi16EfPKfPfEviiT2_lT3_lllS4_lllS3_lT4_llli,comdat
	.globl	_ZL19rocblas_sbmv_kernelILb1ELi64ELi16EfPKfPfEviiT2_lT3_lllS4_lllS3_lT4_llli ; -- Begin function _ZL19rocblas_sbmv_kernelILb1ELi64ELi16EfPKfPfEviiT2_lT3_lllS4_lllS3_lT4_llli
	.p2align	8
	.type	_ZL19rocblas_sbmv_kernelILb1ELi64ELi16EfPKfPfEviiT2_lT3_lllS4_lllS3_lT4_llli,@function
_ZL19rocblas_sbmv_kernelILb1ELi64ELi16EfPKfPfEviiT2_lT3_lllS4_lllS3_lT4_llli: ; @_ZL19rocblas_sbmv_kernelILb1ELi64ELi16EfPKfPfEviiT2_lT3_lllS4_lllS3_lT4_llli
; %bb.0:
	s_load_dwordx2 s[0:1], s[4:5], 0x9c
	s_waitcnt lgkmcnt(0)
	s_lshr_b32 s2, s0, 16
	s_and_b32 s0, s0, 0xffff
	s_and_b32 s1, s1, 0xffff
	s_mul_i32 s2, s2, s0
	s_mul_i32 s2, s2, s1
	s_cmpk_lg_i32 s2, 0x400
	s_cbranch_scc1 .LBB2_30
; %bb.1:
	s_load_dwordx4 s[28:31], s[4:5], 0x0
	s_load_dword s34, s[4:5], 0x58
	s_waitcnt lgkmcnt(0)
	v_cmp_eq_f32_e64 s[2:3], s30, 0
	v_cmp_eq_f32_e64 s[8:9], s34, 1.0
	s_and_b64 s[2:3], s[2:3], s[8:9]
	s_and_b64 vcc, exec, s[2:3]
	s_cbranch_vccnz .LBB2_30
; %bb.2:
	s_load_dwordx8 s[20:27], s[4:5], 0x68
	v_mad_u32_u24 v12, v1, s0, v0
	s_waitcnt lgkmcnt(0)
	s_mul_i32 s1, s27, s7
	s_mul_hi_u32 s2, s26, s7
	s_mul_i32 s0, s26, s7
	s_add_i32 s1, s2, s1
	s_lshl_b64 s[0:1], s[0:1], 2
	s_add_u32 s2, s20, s0
	s_addc_u32 s3, s21, s1
	s_lshl_b64 s[0:1], s[22:23], 2
	s_add_u32 s31, s2, s0
	s_addc_u32 s33, s3, s1
	v_cmp_neq_f32_e64 s[0:1], s30, 0
	s_and_b64 vcc, exec, s[0:1]
	v_cmp_gt_u32_e64 s[0:1], 64, v12
	s_cbranch_vccnz .LBB2_7
; %bb.3:
	v_lshl_add_u32 v3, s6, 6, v12
	v_cmp_gt_i32_e32 vcc, s28, v3
	s_and_b64 s[10:11], s[0:1], vcc
	s_mov_b64 s[0:1], 0
	s_mov_b64 s[2:3], 0
                                        ; implicit-def: $vgpr2
                                        ; implicit-def: $vgpr0_vgpr1
	s_and_saveexec_b64 s[8:9], s[10:11]
	s_cbranch_execz .LBB2_8
; %bb.4:
	v_ashrrev_i32_e32 v0, 31, v3
	v_mul_lo_u32 v4, s25, v3
	v_mul_lo_u32 v5, s24, v0
	v_mad_u64_u32 v[0:1], s[2:3], s24, v3, 0
	v_cmp_eq_f32_e64 s[2:3], s34, 0
	v_mov_b32_e32 v2, 0
	v_add3_u32 v1, v1, v5, v4
	s_and_b64 vcc, exec, s[2:3]
	s_cbranch_vccnz .LBB2_6
; %bb.5:
	v_lshlrev_b64 v[2:3], 2, v[0:1]
	v_mov_b32_e32 v4, s33
	v_add_co_u32_e32 v2, vcc, s31, v2
	v_addc_co_u32_e32 v3, vcc, v4, v3, vcc
	global_load_dword v2, v[2:3], off
	s_waitcnt vmcnt(0)
	v_mul_f32_e32 v2, s34, v2
.LBB2_6:
	s_mov_b64 s[2:3], exec
	s_or_b64 exec, exec, s[8:9]
	s_and_b64 vcc, exec, s[0:1]
	s_cbranch_vccnz .LBB2_9
	s_branch .LBB2_28
.LBB2_7:
	s_mov_b64 s[2:3], 0
                                        ; implicit-def: $vgpr2
                                        ; implicit-def: $vgpr0_vgpr1
	s_cbranch_execnz .LBB2_9
	s_branch .LBB2_28
.LBB2_8:
	s_or_b64 exec, exec, s[8:9]
	s_and_b64 vcc, exec, s[0:1]
	s_cbranch_vccz .LBB2_28
.LBB2_9:
	v_lshrrev_b32_e32 v0, 6, v12
	s_lshl_b32 s35, s6, 6
	v_cmp_gt_i32_e32 vcc, s28, v0
	v_mov_b32_e32 v16, 0
	s_and_saveexec_b64 s[26:27], vcc
	s_cbranch_execz .LBB2_23
; %bb.10:
	s_load_dwordx16 s[8:23], s[4:5], 0x18
	v_and_b32_e32 v7, 63, v12
	v_or_b32_e32 v13, s35, v7
	v_cmp_gt_i32_e32 vcc, s28, v13
	s_waitcnt lgkmcnt(0)
	s_mul_i32 s1, s15, s7
	s_mul_hi_u32 s4, s14, s7
	s_mul_i32 s0, s14, s7
	s_add_i32 s1, s4, s1
	s_lshl_b64 s[4:5], s[0:1], 2
	s_add_u32 s0, s8, s4
	s_addc_u32 s1, s9, s5
	s_lshl_b64 s[10:11], s[10:11], 2
	s_add_u32 s6, s0, s10
	s_addc_u32 s14, s1, s11
	s_mul_i32 s0, s23, s7
	s_mul_hi_u32 s1, s22, s7
	s_add_i32 s1, s1, s0
	s_mul_i32 s0, s22, s7
	s_lshl_b64 s[0:1], s[0:1], 2
	s_add_u32 s7, s16, s0
	s_addc_u32 s15, s17, s1
	s_lshl_b64 s[0:1], s[18:19], 2
	s_add_u32 s18, s7, s0
	s_addc_u32 s19, s15, s1
	v_mul_lo_u32 v3, s13, v13
	v_mad_u64_u32 v[1:2], s[0:1], s12, v13, 0
	v_mad_u64_u32 v[4:5], s[0:1], s12, v0, 0
	s_ashr_i32 s7, s35, 31
	s_mul_i32 s7, s12, s7
	v_add3_u32 v2, v2, s7, v3
	v_lshlrev_b64 v[1:2], 2, v[1:2]
	v_mov_b32_e32 v3, v5
	v_mad_u64_u32 v[5:6], s[0:1], s13, v0, v[3:4]
	v_mov_b32_e32 v8, s14
	v_add_co_u32_e64 v14, s[0:1], s6, v1
	v_addc_co_u32_e64 v15, s[0:1], v8, v2, s[0:1]
	s_add_u32 s0, s8, s10
	s_addc_u32 s1, s9, s11
	v_lshlrev_b64 v[4:5], 2, v[4:5]
	s_add_u32 s0, s0, s4
	s_addc_u32 s1, s1, s5
	v_mov_b32_e32 v2, s1
	v_add_co_u32_e64 v17, s[0:1], s0, v4
	v_mov_b32_e32 v3, 0
	v_addc_co_u32_e64 v18, s[0:1], v2, v5, s[0:1]
	v_mov_b32_e32 v1, v3
	s_add_i32 s0, s29, s35
	v_sub_u32_e32 v4, s29, v7
	s_lshl_b64 s[4:5], s[12:13], 6
	v_add_u32_e32 v2, s0, v7
	v_subrev_u32_e32 v19, s35, v4
	v_mov_b32_e32 v5, v1
	v_sub_u32_e32 v2, v2, v0
	s_mov_b64 s[6:7], 0
	v_mov_b32_e32 v20, s5
	v_mov_b32_e32 v4, v0
	;; [unrolled: 1-line block ×3, first 2 shown]
	s_branch .LBB2_13
.LBB2_11:                               ;   in Loop: Header=BB2_13 Depth=1
	s_or_b64 exec, exec, s[12:13]
.LBB2_12:                               ;   in Loop: Header=BB2_13 Depth=1
	s_or_b64 exec, exec, s[8:9]
	v_add_co_u32_e64 v4, s[0:1], 16, v4
	v_addc_co_u32_e64 v5, s[0:1], 0, v5, s[0:1]
	v_add_co_u32_e64 v17, s[0:1], s4, v17
	v_addc_co_u32_e64 v18, s[0:1], v18, v20, s[0:1]
	v_cmp_le_i32_e64 s[0:1], s28, v4
	v_add_u32_e32 v0, 16, v0
	s_or_b64 s[6:7], s[0:1], s[6:7]
	v_add_u32_e32 v2, -16, v2
	s_andn2_b64 exec, exec, s[6:7]
	s_cbranch_execz .LBB2_22
.LBB2_13:                               ; =>This Inner Loop Header: Depth=1
	s_and_saveexec_b64 s[8:9], vcc
	s_cbranch_execz .LBB2_12
; %bb.14:                               ;   in Loop: Header=BB2_13 Depth=1
	v_cmp_le_i32_e64 s[0:1], v13, v4
	s_mov_b64 s[10:11], 0
                                        ; implicit-def: $vgpr6_vgpr7
	s_and_saveexec_b64 s[12:13], s[0:1]
	s_xor_b64 s[12:13], exec, s[12:13]
; %bb.15:                               ;   in Loop: Header=BB2_13 Depth=1
	v_lshlrev_b64 v[6:7], 2, v[2:3]
	v_add_co_u32_e64 v6, s[0:1], v17, v6
	v_addc_co_u32_e64 v7, s[0:1], v18, v7, s[0:1]
	v_cmp_lt_i32_e64 s[0:1], -1, v2
	s_and_b64 s[10:11], s[0:1], exec
; %bb.16:                               ;   in Loop: Header=BB2_13 Depth=1
	s_or_saveexec_b64 s[12:13], s[12:13]
	v_mov_b32_e32 v9, v5
	v_mov_b32_e32 v8, v4
	s_xor_b64 exec, exec, s[12:13]
	s_cbranch_execz .LBB2_20
; %bb.17:                               ;   in Loop: Header=BB2_13 Depth=1
	v_add_u32_e32 v10, v19, v4
	v_cmp_lt_i32_e64 s[0:1], -1, v10
	s_mov_b64 s[16:17], s[10:11]
                                        ; implicit-def: $vgpr6_vgpr7
                                        ; implicit-def: $vgpr8_vgpr9
	s_and_saveexec_b64 s[14:15], s[0:1]
; %bb.18:                               ;   in Loop: Header=BB2_13 Depth=1
	v_mov_b32_e32 v11, v3
	v_lshlrev_b64 v[6:7], 2, v[10:11]
	v_mov_b32_e32 v1, v3
	v_add_co_u32_e64 v6, s[0:1], v14, v6
	v_mov_b32_e32 v9, v1
	v_addc_co_u32_e64 v7, s[0:1], v15, v7, s[0:1]
	s_or_b64 s[16:17], s[10:11], exec
	v_mov_b32_e32 v8, v0
; %bb.19:                               ;   in Loop: Header=BB2_13 Depth=1
	s_or_b64 exec, exec, s[14:15]
	s_andn2_b64 s[0:1], s[10:11], exec
	s_and_b64 s[10:11], s[16:17], exec
	s_or_b64 s[10:11], s[0:1], s[10:11]
.LBB2_20:                               ;   in Loop: Header=BB2_13 Depth=1
	s_or_b64 exec, exec, s[12:13]
	s_and_saveexec_b64 s[12:13], s[10:11]
	s_cbranch_execz .LBB2_11
; %bb.21:                               ;   in Loop: Header=BB2_13 Depth=1
	v_mul_lo_u32 v1, v9, s20
	v_mul_lo_u32 v10, v8, s21
	v_mad_u64_u32 v[8:9], s[0:1], v8, s20, 0
	global_load_dword v11, v[6:7], off
	v_add3_u32 v9, v9, v10, v1
	v_lshlrev_b64 v[6:7], 2, v[8:9]
	v_mov_b32_e32 v1, s19
	v_add_co_u32_e64 v6, s[0:1], s18, v6
	v_addc_co_u32_e64 v7, s[0:1], v1, v7, s[0:1]
	global_load_dword v1, v[6:7], off
	s_waitcnt vmcnt(0)
	v_fmac_f32_e32 v16, v11, v1
	s_branch .LBB2_11
.LBB2_22:
	s_or_b64 exec, exec, s[6:7]
.LBB2_23:
	s_or_b64 exec, exec, s[26:27]
	v_add_u32_e32 v4, s35, v12
	v_cmp_gt_u32_e32 vcc, 64, v12
	v_cmp_gt_i32_e64 s[0:1], s28, v4
	v_lshlrev_b32_e32 v3, 2, v12
	s_and_b64 s[4:5], vcc, s[0:1]
	ds_write_b32 v3, v16
	s_waitcnt lgkmcnt(0)
	s_barrier
                                        ; implicit-def: $vgpr2
                                        ; implicit-def: $vgpr0_vgpr1
	s_and_saveexec_b64 s[0:1], s[4:5]
	s_cbranch_execz .LBB2_27
; %bb.24:
	ds_read2st64_b32 v[0:1], v3 offset1:1
	ds_read2st64_b32 v[5:6], v3 offset0:2 offset1:3
	ds_read2st64_b32 v[7:8], v3 offset0:4 offset1:5
	;; [unrolled: 1-line block ×4, first 2 shown]
	s_waitcnt lgkmcnt(4)
	v_add_f32_e32 v0, v0, v1
	s_waitcnt lgkmcnt(3)
	v_add_f32_e32 v0, v5, v0
	v_add_f32_e32 v0, v6, v0
	s_waitcnt lgkmcnt(2)
	v_add_f32_e32 v0, v7, v0
	;; [unrolled: 3-line block ×3, first 2 shown]
	v_add_f32_e32 v2, v10, v0
	ds_read2st64_b32 v[0:1], v3 offset0:10 offset1:11
	ds_read2st64_b32 v[5:6], v3 offset0:12 offset1:13
	;; [unrolled: 1-line block ×3, first 2 shown]
	s_waitcnt lgkmcnt(3)
	v_add_f32_e32 v2, v11, v2
	v_add_f32_e32 v2, v12, v2
	s_waitcnt lgkmcnt(2)
	v_add_f32_e32 v0, v0, v2
	v_add_f32_e32 v0, v1, v0
	;; [unrolled: 3-line block ×4, first 2 shown]
	v_ashrrev_i32_e32 v0, 31, v4
	v_mul_lo_u32 v5, s25, v4
	v_mul_lo_u32 v6, s24, v0
	v_mad_u64_u32 v[0:1], s[4:5], s24, v4, 0
	v_cmp_eq_f32_e64 s[4:5], s34, 0
	ds_write_b32 v3, v2
	v_mul_f32_e32 v2, s30, v2
	v_add3_u32 v1, v1, v6, v5
	s_and_b64 vcc, exec, s[4:5]
	s_cbranch_vccnz .LBB2_26
; %bb.25:
	v_lshlrev_b64 v[3:4], 2, v[0:1]
	v_mov_b32_e32 v5, s33
	v_add_co_u32_e32 v3, vcc, s31, v3
	v_addc_co_u32_e32 v4, vcc, v5, v4, vcc
	global_load_dword v3, v[3:4], off
	s_waitcnt vmcnt(0)
	v_fmac_f32_e32 v2, s34, v3
.LBB2_26:
	s_or_b64 s[2:3], s[2:3], exec
.LBB2_27:
	s_or_b64 exec, exec, s[0:1]
.LBB2_28:
	s_and_saveexec_b64 s[0:1], s[2:3]
	s_cbranch_execz .LBB2_30
; %bb.29:
	v_lshlrev_b64 v[0:1], 2, v[0:1]
	v_mov_b32_e32 v3, s33
	v_add_co_u32_e32 v0, vcc, s31, v0
	v_addc_co_u32_e32 v1, vcc, v3, v1, vcc
	global_store_dword v[0:1], v2, off
.LBB2_30:
	s_endpgm
	.section	.rodata,"a",@progbits
	.p2align	6, 0x0
	.amdhsa_kernel _ZL19rocblas_sbmv_kernelILb1ELi64ELi16EfPKfPfEviiT2_lT3_lllS4_lllS3_lT4_llli
		.amdhsa_group_segment_fixed_size 4096
		.amdhsa_private_segment_fixed_size 0
		.amdhsa_kernarg_size 400
		.amdhsa_user_sgpr_count 6
		.amdhsa_user_sgpr_private_segment_buffer 1
		.amdhsa_user_sgpr_dispatch_ptr 0
		.amdhsa_user_sgpr_queue_ptr 0
		.amdhsa_user_sgpr_kernarg_segment_ptr 1
		.amdhsa_user_sgpr_dispatch_id 0
		.amdhsa_user_sgpr_flat_scratch_init 0
		.amdhsa_user_sgpr_private_segment_size 0
		.amdhsa_uses_dynamic_stack 0
		.amdhsa_system_sgpr_private_segment_wavefront_offset 0
		.amdhsa_system_sgpr_workgroup_id_x 1
		.amdhsa_system_sgpr_workgroup_id_y 0
		.amdhsa_system_sgpr_workgroup_id_z 1
		.amdhsa_system_sgpr_workgroup_info 0
		.amdhsa_system_vgpr_workitem_id 1
		.amdhsa_next_free_vgpr 29
		.amdhsa_next_free_sgpr 61
		.amdhsa_reserve_vcc 1
		.amdhsa_reserve_flat_scratch 0
		.amdhsa_float_round_mode_32 0
		.amdhsa_float_round_mode_16_64 0
		.amdhsa_float_denorm_mode_32 3
		.amdhsa_float_denorm_mode_16_64 3
		.amdhsa_dx10_clamp 1
		.amdhsa_ieee_mode 1
		.amdhsa_fp16_overflow 0
		.amdhsa_exception_fp_ieee_invalid_op 0
		.amdhsa_exception_fp_denorm_src 0
		.amdhsa_exception_fp_ieee_div_zero 0
		.amdhsa_exception_fp_ieee_overflow 0
		.amdhsa_exception_fp_ieee_underflow 0
		.amdhsa_exception_fp_ieee_inexact 0
		.amdhsa_exception_int_div_zero 0
	.end_amdhsa_kernel
	.section	.text._ZL19rocblas_sbmv_kernelILb1ELi64ELi16EfPKfPfEviiT2_lT3_lllS4_lllS3_lT4_llli,"axG",@progbits,_ZL19rocblas_sbmv_kernelILb1ELi64ELi16EfPKfPfEviiT2_lT3_lllS4_lllS3_lT4_llli,comdat
.Lfunc_end2:
	.size	_ZL19rocblas_sbmv_kernelILb1ELi64ELi16EfPKfPfEviiT2_lT3_lllS4_lllS3_lT4_llli, .Lfunc_end2-_ZL19rocblas_sbmv_kernelILb1ELi64ELi16EfPKfPfEviiT2_lT3_lllS4_lllS3_lT4_llli
                                        ; -- End function
	.set _ZL19rocblas_sbmv_kernelILb1ELi64ELi16EfPKfPfEviiT2_lT3_lllS4_lllS3_lT4_llli.num_vgpr, 21
	.set _ZL19rocblas_sbmv_kernelILb1ELi64ELi16EfPKfPfEviiT2_lT3_lllS4_lllS3_lT4_llli.num_agpr, 0
	.set _ZL19rocblas_sbmv_kernelILb1ELi64ELi16EfPKfPfEviiT2_lT3_lllS4_lllS3_lT4_llli.numbered_sgpr, 36
	.set _ZL19rocblas_sbmv_kernelILb1ELi64ELi16EfPKfPfEviiT2_lT3_lllS4_lllS3_lT4_llli.num_named_barrier, 0
	.set _ZL19rocblas_sbmv_kernelILb1ELi64ELi16EfPKfPfEviiT2_lT3_lllS4_lllS3_lT4_llli.private_seg_size, 0
	.set _ZL19rocblas_sbmv_kernelILb1ELi64ELi16EfPKfPfEviiT2_lT3_lllS4_lllS3_lT4_llli.uses_vcc, 1
	.set _ZL19rocblas_sbmv_kernelILb1ELi64ELi16EfPKfPfEviiT2_lT3_lllS4_lllS3_lT4_llli.uses_flat_scratch, 0
	.set _ZL19rocblas_sbmv_kernelILb1ELi64ELi16EfPKfPfEviiT2_lT3_lllS4_lllS3_lT4_llli.has_dyn_sized_stack, 0
	.set _ZL19rocblas_sbmv_kernelILb1ELi64ELi16EfPKfPfEviiT2_lT3_lllS4_lllS3_lT4_llli.has_recursion, 0
	.set _ZL19rocblas_sbmv_kernelILb1ELi64ELi16EfPKfPfEviiT2_lT3_lllS4_lllS3_lT4_llli.has_indirect_call, 0
	.section	.AMDGPU.csdata,"",@progbits
; Kernel info:
; codeLenInByte = 1348
; TotalNumSgprs: 40
; NumVgprs: 21
; ScratchSize: 0
; MemoryBound: 0
; FloatMode: 240
; IeeeMode: 1
; LDSByteSize: 4096 bytes/workgroup (compile time only)
; SGPRBlocks: 8
; VGPRBlocks: 7
; NumSGPRsForWavesPerEU: 65
; NumVGPRsForWavesPerEU: 29
; Occupancy: 8
; WaveLimiterHint : 1
; COMPUTE_PGM_RSRC2:SCRATCH_EN: 0
; COMPUTE_PGM_RSRC2:USER_SGPR: 6
; COMPUTE_PGM_RSRC2:TRAP_HANDLER: 0
; COMPUTE_PGM_RSRC2:TGID_X_EN: 1
; COMPUTE_PGM_RSRC2:TGID_Y_EN: 0
; COMPUTE_PGM_RSRC2:TGID_Z_EN: 1
; COMPUTE_PGM_RSRC2:TIDIG_COMP_CNT: 1
	.section	.text._ZL19rocblas_sbmv_kernelILb0ELi64ELi16EfPKfPfEviiT2_lT3_lllS4_lllS3_lT4_llli,"axG",@progbits,_ZL19rocblas_sbmv_kernelILb0ELi64ELi16EfPKfPfEviiT2_lT3_lllS4_lllS3_lT4_llli,comdat
	.globl	_ZL19rocblas_sbmv_kernelILb0ELi64ELi16EfPKfPfEviiT2_lT3_lllS4_lllS3_lT4_llli ; -- Begin function _ZL19rocblas_sbmv_kernelILb0ELi64ELi16EfPKfPfEviiT2_lT3_lllS4_lllS3_lT4_llli
	.p2align	8
	.type	_ZL19rocblas_sbmv_kernelILb0ELi64ELi16EfPKfPfEviiT2_lT3_lllS4_lllS3_lT4_llli,@function
_ZL19rocblas_sbmv_kernelILb0ELi64ELi16EfPKfPfEviiT2_lT3_lllS4_lllS3_lT4_llli: ; @_ZL19rocblas_sbmv_kernelILb0ELi64ELi16EfPKfPfEviiT2_lT3_lllS4_lllS3_lT4_llli
; %bb.0:
	s_load_dwordx2 s[0:1], s[4:5], 0x9c
	s_waitcnt lgkmcnt(0)
	s_lshr_b32 s2, s0, 16
	s_and_b32 s0, s0, 0xffff
	s_and_b32 s1, s1, 0xffff
	s_mul_i32 s2, s2, s0
	s_mul_i32 s2, s2, s1
	s_cmpk_lg_i32 s2, 0x400
	s_cbranch_scc1 .LBB3_30
; %bb.1:
	s_load_dwordx4 s[28:31], s[4:5], 0x0
	s_load_dword s34, s[4:5], 0x58
	s_waitcnt lgkmcnt(0)
	v_cmp_eq_f32_e64 s[2:3], s30, 0
	v_cmp_eq_f32_e64 s[8:9], s34, 1.0
	s_and_b64 s[2:3], s[2:3], s[8:9]
	s_and_b64 vcc, exec, s[2:3]
	s_cbranch_vccnz .LBB3_30
; %bb.2:
	s_load_dwordx8 s[20:27], s[4:5], 0x68
	v_mad_u32_u24 v10, v1, s0, v0
	s_waitcnt lgkmcnt(0)
	s_mul_i32 s1, s27, s7
	s_mul_hi_u32 s2, s26, s7
	s_mul_i32 s0, s26, s7
	s_add_i32 s1, s2, s1
	s_lshl_b64 s[0:1], s[0:1], 2
	s_add_u32 s2, s20, s0
	s_addc_u32 s3, s21, s1
	s_lshl_b64 s[0:1], s[22:23], 2
	s_add_u32 s31, s2, s0
	s_addc_u32 s33, s3, s1
	v_cmp_neq_f32_e64 s[0:1], s30, 0
	s_and_b64 vcc, exec, s[0:1]
	v_cmp_gt_u32_e64 s[0:1], 64, v10
	s_cbranch_vccnz .LBB3_7
; %bb.3:
	v_lshl_add_u32 v3, s6, 6, v10
	v_cmp_gt_i32_e32 vcc, s28, v3
	s_and_b64 s[10:11], s[0:1], vcc
	s_mov_b64 s[0:1], 0
	s_mov_b64 s[2:3], 0
                                        ; implicit-def: $vgpr2
                                        ; implicit-def: $vgpr0_vgpr1
	s_and_saveexec_b64 s[8:9], s[10:11]
	s_cbranch_execz .LBB3_8
; %bb.4:
	v_ashrrev_i32_e32 v0, 31, v3
	v_mul_lo_u32 v4, s25, v3
	v_mul_lo_u32 v5, s24, v0
	v_mad_u64_u32 v[0:1], s[2:3], s24, v3, 0
	v_cmp_eq_f32_e64 s[2:3], s34, 0
	v_mov_b32_e32 v2, 0
	v_add3_u32 v1, v1, v5, v4
	s_and_b64 vcc, exec, s[2:3]
	s_cbranch_vccnz .LBB3_6
; %bb.5:
	v_lshlrev_b64 v[2:3], 2, v[0:1]
	v_mov_b32_e32 v4, s33
	v_add_co_u32_e32 v2, vcc, s31, v2
	v_addc_co_u32_e32 v3, vcc, v4, v3, vcc
	global_load_dword v2, v[2:3], off
	s_waitcnt vmcnt(0)
	v_mul_f32_e32 v2, s34, v2
.LBB3_6:
	s_mov_b64 s[2:3], exec
	s_or_b64 exec, exec, s[8:9]
	s_and_b64 vcc, exec, s[0:1]
	s_cbranch_vccnz .LBB3_9
	s_branch .LBB3_28
.LBB3_7:
	s_mov_b64 s[2:3], 0
                                        ; implicit-def: $vgpr2
                                        ; implicit-def: $vgpr0_vgpr1
	s_cbranch_execnz .LBB3_9
	s_branch .LBB3_28
.LBB3_8:
	s_or_b64 exec, exec, s[8:9]
	s_and_b64 vcc, exec, s[0:1]
	s_cbranch_vccz .LBB3_28
.LBB3_9:
	v_lshrrev_b32_e32 v0, 6, v10
	s_lshl_b32 s35, s6, 6
	v_cmp_gt_i32_e32 vcc, s28, v0
	v_mov_b32_e32 v14, 0
	s_and_saveexec_b64 s[26:27], vcc
	s_cbranch_execz .LBB3_23
; %bb.10:
	s_load_dwordx16 s[8:23], s[4:5], 0x18
	v_and_b32_e32 v6, 63, v10
	v_or_b32_e32 v11, s35, v6
	v_cmp_gt_i32_e32 vcc, s28, v11
	v_mov_b32_e32 v14, 0
	s_waitcnt lgkmcnt(0)
	s_mul_i32 s1, s15, s7
	s_mul_hi_u32 s4, s14, s7
	s_mul_i32 s0, s14, s7
	s_add_i32 s1, s4, s1
	s_lshl_b64 s[0:1], s[0:1], 2
	s_add_u32 s6, s8, s0
	s_addc_u32 s14, s9, s1
	s_lshl_b64 s[4:5], s[10:11], 2
	s_add_u32 s15, s6, s4
	s_mul_i32 s6, s23, s7
	s_mul_hi_u32 s10, s22, s7
	s_addc_u32 s14, s14, s5
	s_add_i32 s11, s10, s6
	s_mul_i32 s10, s22, s7
	s_lshl_b64 s[6:7], s[10:11], 2
	s_add_u32 s10, s16, s6
	s_addc_u32 s11, s17, s7
	s_lshl_b64 s[6:7], s[18:19], 2
	s_add_u32 s16, s10, s6
	s_addc_u32 s17, s11, s7
	v_mul_lo_u32 v3, s13, v11
	v_mad_u64_u32 v[1:2], s[6:7], s12, v11, 0
	s_ashr_i32 s6, s35, 31
	s_mul_i32 s6, s12, s6
	v_add3_u32 v2, v2, s6, v3
	s_lshl_b64 s[6:7], s[12:13], 2
	s_add_u32 s6, s6, -4
	s_addc_u32 s7, s7, -1
	s_add_u32 s0, s4, s0
	s_addc_u32 s1, s5, s1
	v_mov_b32_e32 v4, s1
	v_mov_b32_e32 v3, s0
	v_mad_u64_u32 v[3:4], s[0:1], v0, s6, v[3:4]
	v_lshlrev_b64 v[1:2], 2, v[1:2]
	v_mov_b32_e32 v5, s14
	v_add_co_u32_e64 v12, s[0:1], s15, v1
	v_addc_co_u32_e64 v13, s[0:1], v5, v2, s[0:1]
	v_mov_b32_e32 v2, v4
	v_mad_u64_u32 v[4:5], s[0:1], v0, s7, v[2:3]
	v_add_u32_e32 v5, s35, v6
	v_ashrrev_i32_e32 v6, 31, v5
	v_lshlrev_b64 v[6:7], 2, v[5:6]
	v_mov_b32_e32 v1, 0
	v_add_co_u32_e64 v2, s[0:1], v3, v6
	v_addc_co_u32_e64 v3, s[0:1], v4, v7, s[0:1]
	v_mov_b32_e32 v4, s9
	v_add_co_u32_e64 v2, s[0:1], s8, v2
	v_addc_co_u32_e64 v3, s[0:1], v4, v3, s[0:1]
	s_lshl_b64 s[0:1], s[12:13], 6
	s_add_u32 s18, s0, 0xffffffc0
	s_addc_u32 s0, s1, -1
	v_sub_u32_e32 v15, 0, v5
	v_sub_u32_e32 v16, v5, v0
	v_mov_b32_e32 v5, v1
	s_mov_b64 s[4:5], 0
	v_mov_b32_e32 v17, s0
	v_mov_b32_e32 v4, v0
	s_branch .LBB3_13
.LBB3_11:                               ;   in Loop: Header=BB3_13 Depth=1
	s_or_b64 exec, exec, s[10:11]
.LBB3_12:                               ;   in Loop: Header=BB3_13 Depth=1
	s_or_b64 exec, exec, s[6:7]
	v_add_co_u32_e64 v4, s[0:1], 16, v4
	v_addc_co_u32_e64 v5, s[0:1], 0, v5, s[0:1]
	v_add_co_u32_e64 v2, s[0:1], s18, v2
	v_addc_co_u32_e64 v3, s[0:1], v3, v17, s[0:1]
	v_cmp_le_i32_e64 s[0:1], s28, v4
	v_add_u32_e32 v0, 16, v0
	s_or_b64 s[4:5], s[0:1], s[4:5]
	v_add_u32_e32 v16, -16, v16
	s_andn2_b64 exec, exec, s[4:5]
	s_cbranch_execz .LBB3_22
.LBB3_13:                               ; =>This Inner Loop Header: Depth=1
	s_and_saveexec_b64 s[6:7], vcc
	s_cbranch_execz .LBB3_12
; %bb.14:                               ;   in Loop: Header=BB3_13 Depth=1
	v_cmp_ge_i32_e64 s[0:1], v11, v4
	s_mov_b64 s[8:9], 0
	s_and_saveexec_b64 s[10:11], s[0:1]
	s_xor_b64 s[10:11], exec, s[10:11]
; %bb.15:                               ;   in Loop: Header=BB3_13 Depth=1
	v_cmp_ge_i32_e64 s[0:1], s29, v16
	s_and_b64 s[8:9], s[0:1], exec
; %bb.16:                               ;   in Loop: Header=BB3_13 Depth=1
	s_or_saveexec_b64 s[10:11], s[10:11]
	v_mov_b32_e32 v7, v3
	v_mov_b32_e32 v9, v5
	;; [unrolled: 1-line block ×4, first 2 shown]
	s_xor_b64 exec, exec, s[10:11]
	s_cbranch_execz .LBB3_20
; %bb.17:                               ;   in Loop: Header=BB3_13 Depth=1
	v_add_u32_e32 v6, v15, v4
	v_cmp_ge_i32_e64 s[0:1], s29, v6
	s_mov_b64 s[14:15], s[8:9]
                                        ; implicit-def: $vgpr6_vgpr7
                                        ; implicit-def: $vgpr8_vgpr9
	s_and_saveexec_b64 s[12:13], s[0:1]
; %bb.18:                               ;   in Loop: Header=BB3_13 Depth=1
	v_sub_u32_e32 v6, v0, v11
	v_ashrrev_i32_e32 v7, 31, v6
	v_lshlrev_b64 v[6:7], 2, v[6:7]
	v_mov_b32_e32 v9, v1
	v_add_co_u32_e64 v6, s[0:1], v12, v6
	v_addc_co_u32_e64 v7, s[0:1], v13, v7, s[0:1]
	s_or_b64 s[14:15], s[8:9], exec
	v_mov_b32_e32 v8, v0
; %bb.19:                               ;   in Loop: Header=BB3_13 Depth=1
	s_or_b64 exec, exec, s[12:13]
	s_andn2_b64 s[0:1], s[8:9], exec
	s_and_b64 s[8:9], s[14:15], exec
	s_or_b64 s[8:9], s[0:1], s[8:9]
.LBB3_20:                               ;   in Loop: Header=BB3_13 Depth=1
	s_or_b64 exec, exec, s[10:11]
	s_and_saveexec_b64 s[10:11], s[8:9]
	s_cbranch_execz .LBB3_11
; %bb.21:                               ;   in Loop: Header=BB3_13 Depth=1
	v_mul_lo_u32 v18, v9, s20
	v_mul_lo_u32 v19, v8, s21
	v_mad_u64_u32 v[8:9], s[0:1], v8, s20, 0
	global_load_dword v20, v[6:7], off
	v_add3_u32 v9, v9, v19, v18
	v_lshlrev_b64 v[6:7], 2, v[8:9]
	v_mov_b32_e32 v8, s17
	v_add_co_u32_e64 v6, s[0:1], s16, v6
	v_addc_co_u32_e64 v7, s[0:1], v8, v7, s[0:1]
	global_load_dword v6, v[6:7], off
	s_waitcnt vmcnt(0)
	v_fmac_f32_e32 v14, v20, v6
	s_branch .LBB3_11
.LBB3_22:
	s_or_b64 exec, exec, s[4:5]
.LBB3_23:
	s_or_b64 exec, exec, s[26:27]
	v_add_u32_e32 v4, s35, v10
	v_cmp_gt_u32_e32 vcc, 64, v10
	v_cmp_gt_i32_e64 s[0:1], s28, v4
	v_lshlrev_b32_e32 v3, 2, v10
	s_and_b64 s[4:5], vcc, s[0:1]
	ds_write_b32 v3, v14
	s_waitcnt lgkmcnt(0)
	s_barrier
                                        ; implicit-def: $vgpr2
                                        ; implicit-def: $vgpr0_vgpr1
	s_and_saveexec_b64 s[0:1], s[4:5]
	s_cbranch_execz .LBB3_27
; %bb.24:
	ds_read2st64_b32 v[0:1], v3 offset1:1
	ds_read2st64_b32 v[5:6], v3 offset0:2 offset1:3
	ds_read2st64_b32 v[7:8], v3 offset0:4 offset1:5
	;; [unrolled: 1-line block ×4, first 2 shown]
	s_waitcnt lgkmcnt(4)
	v_add_f32_e32 v0, v0, v1
	s_waitcnt lgkmcnt(3)
	v_add_f32_e32 v0, v5, v0
	v_add_f32_e32 v0, v6, v0
	s_waitcnt lgkmcnt(2)
	v_add_f32_e32 v0, v7, v0
	;; [unrolled: 3-line block ×3, first 2 shown]
	v_add_f32_e32 v2, v10, v0
	ds_read2st64_b32 v[0:1], v3 offset0:10 offset1:11
	ds_read2st64_b32 v[5:6], v3 offset0:12 offset1:13
	;; [unrolled: 1-line block ×3, first 2 shown]
	s_waitcnt lgkmcnt(3)
	v_add_f32_e32 v2, v11, v2
	v_add_f32_e32 v2, v12, v2
	s_waitcnt lgkmcnt(2)
	v_add_f32_e32 v0, v0, v2
	v_add_f32_e32 v0, v1, v0
	;; [unrolled: 3-line block ×4, first 2 shown]
	v_ashrrev_i32_e32 v0, 31, v4
	v_mul_lo_u32 v5, s25, v4
	v_mul_lo_u32 v6, s24, v0
	v_mad_u64_u32 v[0:1], s[4:5], s24, v4, 0
	v_cmp_eq_f32_e64 s[4:5], s34, 0
	ds_write_b32 v3, v2
	v_mul_f32_e32 v2, s30, v2
	v_add3_u32 v1, v1, v6, v5
	s_and_b64 vcc, exec, s[4:5]
	s_cbranch_vccnz .LBB3_26
; %bb.25:
	v_lshlrev_b64 v[3:4], 2, v[0:1]
	v_mov_b32_e32 v5, s33
	v_add_co_u32_e32 v3, vcc, s31, v3
	v_addc_co_u32_e32 v4, vcc, v5, v4, vcc
	global_load_dword v3, v[3:4], off
	s_waitcnt vmcnt(0)
	v_fmac_f32_e32 v2, s34, v3
.LBB3_26:
	s_or_b64 s[2:3], s[2:3], exec
.LBB3_27:
	s_or_b64 exec, exec, s[0:1]
.LBB3_28:
	s_and_saveexec_b64 s[0:1], s[2:3]
	s_cbranch_execz .LBB3_30
; %bb.29:
	v_lshlrev_b64 v[0:1], 2, v[0:1]
	v_mov_b32_e32 v3, s33
	v_add_co_u32_e32 v0, vcc, s31, v0
	v_addc_co_u32_e32 v1, vcc, v3, v1, vcc
	global_store_dword v[0:1], v2, off
.LBB3_30:
	s_endpgm
	.section	.rodata,"a",@progbits
	.p2align	6, 0x0
	.amdhsa_kernel _ZL19rocblas_sbmv_kernelILb0ELi64ELi16EfPKfPfEviiT2_lT3_lllS4_lllS3_lT4_llli
		.amdhsa_group_segment_fixed_size 4096
		.amdhsa_private_segment_fixed_size 0
		.amdhsa_kernarg_size 400
		.amdhsa_user_sgpr_count 6
		.amdhsa_user_sgpr_private_segment_buffer 1
		.amdhsa_user_sgpr_dispatch_ptr 0
		.amdhsa_user_sgpr_queue_ptr 0
		.amdhsa_user_sgpr_kernarg_segment_ptr 1
		.amdhsa_user_sgpr_dispatch_id 0
		.amdhsa_user_sgpr_flat_scratch_init 0
		.amdhsa_user_sgpr_private_segment_size 0
		.amdhsa_uses_dynamic_stack 0
		.amdhsa_system_sgpr_private_segment_wavefront_offset 0
		.amdhsa_system_sgpr_workgroup_id_x 1
		.amdhsa_system_sgpr_workgroup_id_y 0
		.amdhsa_system_sgpr_workgroup_id_z 1
		.amdhsa_system_sgpr_workgroup_info 0
		.amdhsa_system_vgpr_workitem_id 1
		.amdhsa_next_free_vgpr 29
		.amdhsa_next_free_sgpr 61
		.amdhsa_reserve_vcc 1
		.amdhsa_reserve_flat_scratch 0
		.amdhsa_float_round_mode_32 0
		.amdhsa_float_round_mode_16_64 0
		.amdhsa_float_denorm_mode_32 3
		.amdhsa_float_denorm_mode_16_64 3
		.amdhsa_dx10_clamp 1
		.amdhsa_ieee_mode 1
		.amdhsa_fp16_overflow 0
		.amdhsa_exception_fp_ieee_invalid_op 0
		.amdhsa_exception_fp_denorm_src 0
		.amdhsa_exception_fp_ieee_div_zero 0
		.amdhsa_exception_fp_ieee_overflow 0
		.amdhsa_exception_fp_ieee_underflow 0
		.amdhsa_exception_fp_ieee_inexact 0
		.amdhsa_exception_int_div_zero 0
	.end_amdhsa_kernel
	.section	.text._ZL19rocblas_sbmv_kernelILb0ELi64ELi16EfPKfPfEviiT2_lT3_lllS4_lllS3_lT4_llli,"axG",@progbits,_ZL19rocblas_sbmv_kernelILb0ELi64ELi16EfPKfPfEviiT2_lT3_lllS4_lllS3_lT4_llli,comdat
.Lfunc_end3:
	.size	_ZL19rocblas_sbmv_kernelILb0ELi64ELi16EfPKfPfEviiT2_lT3_lllS4_lllS3_lT4_llli, .Lfunc_end3-_ZL19rocblas_sbmv_kernelILb0ELi64ELi16EfPKfPfEviiT2_lT3_lllS4_lllS3_lT4_llli
                                        ; -- End function
	.set _ZL19rocblas_sbmv_kernelILb0ELi64ELi16EfPKfPfEviiT2_lT3_lllS4_lllS3_lT4_llli.num_vgpr, 21
	.set _ZL19rocblas_sbmv_kernelILb0ELi64ELi16EfPKfPfEviiT2_lT3_lllS4_lllS3_lT4_llli.num_agpr, 0
	.set _ZL19rocblas_sbmv_kernelILb0ELi64ELi16EfPKfPfEviiT2_lT3_lllS4_lllS3_lT4_llli.numbered_sgpr, 36
	.set _ZL19rocblas_sbmv_kernelILb0ELi64ELi16EfPKfPfEviiT2_lT3_lllS4_lllS3_lT4_llli.num_named_barrier, 0
	.set _ZL19rocblas_sbmv_kernelILb0ELi64ELi16EfPKfPfEviiT2_lT3_lllS4_lllS3_lT4_llli.private_seg_size, 0
	.set _ZL19rocblas_sbmv_kernelILb0ELi64ELi16EfPKfPfEviiT2_lT3_lllS4_lllS3_lT4_llli.uses_vcc, 1
	.set _ZL19rocblas_sbmv_kernelILb0ELi64ELi16EfPKfPfEviiT2_lT3_lllS4_lllS3_lT4_llli.uses_flat_scratch, 0
	.set _ZL19rocblas_sbmv_kernelILb0ELi64ELi16EfPKfPfEviiT2_lT3_lllS4_lllS3_lT4_llli.has_dyn_sized_stack, 0
	.set _ZL19rocblas_sbmv_kernelILb0ELi64ELi16EfPKfPfEviiT2_lT3_lllS4_lllS3_lT4_llli.has_recursion, 0
	.set _ZL19rocblas_sbmv_kernelILb0ELi64ELi16EfPKfPfEviiT2_lT3_lllS4_lllS3_lT4_llli.has_indirect_call, 0
	.section	.AMDGPU.csdata,"",@progbits
; Kernel info:
; codeLenInByte = 1364
; TotalNumSgprs: 40
; NumVgprs: 21
; ScratchSize: 0
; MemoryBound: 0
; FloatMode: 240
; IeeeMode: 1
; LDSByteSize: 4096 bytes/workgroup (compile time only)
; SGPRBlocks: 8
; VGPRBlocks: 7
; NumSGPRsForWavesPerEU: 65
; NumVGPRsForWavesPerEU: 29
; Occupancy: 8
; WaveLimiterHint : 1
; COMPUTE_PGM_RSRC2:SCRATCH_EN: 0
; COMPUTE_PGM_RSRC2:USER_SGPR: 6
; COMPUTE_PGM_RSRC2:TRAP_HANDLER: 0
; COMPUTE_PGM_RSRC2:TGID_X_EN: 1
; COMPUTE_PGM_RSRC2:TGID_Y_EN: 0
; COMPUTE_PGM_RSRC2:TGID_Z_EN: 1
; COMPUTE_PGM_RSRC2:TIDIG_COMP_CNT: 1
	.section	.text._ZL19rocblas_sbmv_kernelILb1ELi64ELi16EPKdS1_PdEviiT2_lT3_lllS4_lllS3_lT4_llli,"axG",@progbits,_ZL19rocblas_sbmv_kernelILb1ELi64ELi16EPKdS1_PdEviiT2_lT3_lllS4_lllS3_lT4_llli,comdat
	.globl	_ZL19rocblas_sbmv_kernelILb1ELi64ELi16EPKdS1_PdEviiT2_lT3_lllS4_lllS3_lT4_llli ; -- Begin function _ZL19rocblas_sbmv_kernelILb1ELi64ELi16EPKdS1_PdEviiT2_lT3_lllS4_lllS3_lT4_llli
	.p2align	8
	.type	_ZL19rocblas_sbmv_kernelILb1ELi64ELi16EPKdS1_PdEviiT2_lT3_lllS4_lllS3_lT4_llli,@function
_ZL19rocblas_sbmv_kernelILb1ELi64ELi16EPKdS1_PdEviiT2_lT3_lllS4_lllS3_lT4_llli: ; @_ZL19rocblas_sbmv_kernelILb1ELi64ELi16EPKdS1_PdEviiT2_lT3_lllS4_lllS3_lT4_llli
; %bb.0:
	s_load_dwordx2 s[0:1], s[4:5], 0x9c
	s_waitcnt lgkmcnt(0)
	s_lshr_b32 s2, s0, 16
	s_and_b32 s0, s0, 0xffff
	s_and_b32 s1, s1, 0xffff
	s_mul_i32 s2, s2, s0
	s_mul_i32 s2, s2, s1
	s_cmpk_lg_i32 s2, 0x400
	s_cbranch_scc1 .LBB4_30
; %bb.1:
	s_load_dwordx16 s[36:51], s[4:5], 0x8
	s_load_dwordx16 s[8:23], s[4:5], 0x48
	s_waitcnt lgkmcnt(0)
	s_mul_i32 s1, s39, s7
	s_mul_hi_u32 s3, s38, s7
	s_mul_i32 s2, s38, s7
	s_add_i32 s3, s3, s1
	s_lshl_b64 s[2:3], s[2:3], 3
	s_add_u32 s2, s36, s2
	s_mul_i32 s15, s15, s7
	s_addc_u32 s3, s37, s3
	s_mul_hi_u32 s1, s14, s7
	s_load_dwordx2 s[24:25], s[2:3], 0x0
	s_add_i32 s3, s1, s15
	s_mul_i32 s2, s14, s7
	s_lshl_b64 s[2:3], s[2:3], 3
	s_add_u32 s2, s12, s2
	s_addc_u32 s3, s13, s3
	s_load_dwordx2 s[2:3], s[2:3], 0x0
	s_waitcnt lgkmcnt(0)
	v_cmp_eq_f64_e64 s[12:13], s[24:25], 0
	v_cmp_eq_f64_e64 s[14:15], s[2:3], 1.0
	s_and_b64 s[12:13], s[12:13], s[14:15]
	s_and_b64 vcc, exec, s[12:13]
	s_cbranch_vccnz .LBB4_30
; %bb.2:
	v_cmp_neq_f64_e64 s[14:15], s[24:25], 0
	s_load_dwordx2 s[12:13], s[4:5], 0x0
	s_mul_i32 s1, s23, s7
	s_mul_hi_u32 s4, s22, s7
	s_add_i32 s5, s4, s1
	s_mul_i32 s4, s22, s7
	s_lshl_b64 s[4:5], s[4:5], 3
	s_add_u32 s1, s16, s4
	s_addc_u32 s16, s17, s5
	s_lshl_b64 s[4:5], s[18:19], 3
	s_add_u32 s30, s1, s4
	v_mad_u32_u24 v14, v1, s0, v0
	s_addc_u32 s31, s16, s5
	s_mov_b64 s[4:5], 0
	s_and_b64 vcc, exec, s[14:15]
	v_cmp_gt_u32_e64 s[0:1], 64, v14
	s_cbranch_vccnz .LBB4_7
; %bb.3:
	v_lshl_add_u32 v4, s6, 6, v14
	s_waitcnt lgkmcnt(0)
	v_cmp_gt_i32_e32 vcc, s12, v4
	s_and_b64 s[16:17], s[0:1], vcc
	s_mov_b64 s[0:1], 0
                                        ; implicit-def: $vgpr0_vgpr1
                                        ; implicit-def: $vgpr2_vgpr3
	s_and_saveexec_b64 s[14:15], s[16:17]
	s_cbranch_execz .LBB4_8
; %bb.4:
	v_cmp_eq_f64_e64 s[4:5], s[2:3], 0
	v_ashrrev_i32_e32 v0, 31, v4
	v_mul_lo_u32 v5, s21, v4
	v_mul_lo_u32 v6, s20, v0
	v_mad_u64_u32 v[2:3], s[16:17], s20, v4, 0
	v_mov_b32_e32 v0, 0
	v_mov_b32_e32 v1, 0
	v_add3_u32 v3, v3, v6, v5
	s_and_b64 vcc, exec, s[4:5]
	s_cbranch_vccnz .LBB4_6
; %bb.5:
	v_lshlrev_b64 v[0:1], 3, v[2:3]
	v_mov_b32_e32 v4, s31
	v_add_co_u32_e32 v0, vcc, s30, v0
	v_addc_co_u32_e32 v1, vcc, v4, v1, vcc
	global_load_dwordx2 v[0:1], v[0:1], off
	s_waitcnt vmcnt(0)
	v_mul_f64 v[0:1], s[2:3], v[0:1]
.LBB4_6:
	s_mov_b64 s[4:5], exec
	s_or_b64 exec, exec, s[14:15]
	s_and_b64 vcc, exec, s[0:1]
	s_cbranch_vccnz .LBB4_9
	s_branch .LBB4_28
.LBB4_7:
                                        ; implicit-def: $vgpr0_vgpr1
                                        ; implicit-def: $vgpr2_vgpr3
	s_cbranch_execnz .LBB4_9
	s_branch .LBB4_28
.LBB4_8:
	s_or_b64 exec, exec, s[14:15]
	s_and_b64 vcc, exec, s[0:1]
	s_cbranch_vccz .LBB4_28
.LBB4_9:
	v_lshrrev_b32_e32 v0, 6, v14
	v_mov_b32_e32 v4, 0
	s_lshl_b32 s33, s6, 6
	v_mov_b32_e32 v5, 0
	s_waitcnt lgkmcnt(0)
	v_cmp_gt_i32_e32 vcc, s12, v0
	s_and_saveexec_b64 s[14:15], vcc
	s_cbranch_execz .LBB4_23
; %bb.10:
	s_mul_i32 s0, s47, s7
	s_mul_hi_u32 s1, s46, s7
	s_add_i32 s1, s1, s0
	s_mul_i32 s0, s46, s7
	s_lshl_b64 s[16:17], s[0:1], 3
	s_add_u32 s0, s40, s16
	s_addc_u32 s1, s41, s17
	s_lshl_b64 s[18:19], s[42:43], 3
	s_add_u32 s6, s0, s18
	s_addc_u32 s22, s1, s19
	s_mul_i32 s0, s11, s7
	s_mul_hi_u32 s1, s10, s7
	s_add_i32 s1, s1, s0
	s_mul_i32 s0, s10, s7
	s_lshl_b64 s[0:1], s[0:1], 3
	s_add_u32 s7, s48, s0
	v_and_b32_e32 v7, 63, v14
	s_addc_u32 s10, s49, s1
	s_lshl_b64 s[0:1], s[50:51], 3
	v_or_b32_e32 v15, s33, v7
	s_add_u32 s34, s7, s0
	s_addc_u32 s35, s10, s1
	v_mul_lo_u32 v3, s45, v15
	v_mad_u64_u32 v[1:2], s[0:1], s44, v15, 0
	v_mad_u64_u32 v[4:5], s[0:1], s44, v0, 0
	s_ashr_i32 s7, s33, 31
	s_mul_i32 s7, s44, s7
	v_add3_u32 v2, v2, s7, v3
	v_lshlrev_b64 v[1:2], 3, v[1:2]
	v_mov_b32_e32 v3, v5
	v_mad_u64_u32 v[5:6], s[0:1], s45, v0, v[3:4]
	v_mov_b32_e32 v8, s22
	v_add_co_u32_e64 v16, s[0:1], s6, v1
	v_addc_co_u32_e64 v17, s[0:1], v8, v2, s[0:1]
	s_add_u32 s0, s40, s18
	s_addc_u32 s1, s41, s19
	v_lshlrev_b64 v[4:5], 3, v[4:5]
	s_add_u32 s0, s0, s16
	s_addc_u32 s1, s1, s17
	v_mov_b32_e32 v2, s1
	v_add_co_u32_e64 v18, s[0:1], s0, v4
	v_mov_b32_e32 v3, 0
	v_addc_co_u32_e64 v19, s[0:1], v2, v5, s[0:1]
	v_mov_b32_e32 v1, v3
	s_add_i32 s0, s13, s33
	v_sub_u32_e32 v4, s13, v7
	v_add_u32_e32 v2, s0, v7
	v_subrev_u32_e32 v20, s33, v4
	v_mov_b32_e32 v4, 0
	v_mov_b32_e32 v7, v1
	v_cmp_gt_i32_e32 vcc, s12, v15
	s_lshl_b64 s[6:7], s[44:45], 7
	v_sub_u32_e32 v2, v2, v0
	v_mov_b32_e32 v5, 0
	s_mov_b64 s[10:11], 0
	v_mov_b32_e32 v6, v0
	s_branch .LBB4_13
.LBB4_11:                               ;   in Loop: Header=BB4_13 Depth=1
	s_or_b64 exec, exec, s[22:23]
.LBB4_12:                               ;   in Loop: Header=BB4_13 Depth=1
	s_or_b64 exec, exec, s[16:17]
	v_add_co_u32_e64 v6, s[0:1], 16, v6
	v_addc_co_u32_e64 v7, s[0:1], 0, v7, s[0:1]
	v_mov_b32_e32 v1, s7
	v_add_co_u32_e64 v18, s[0:1], s6, v18
	v_addc_co_u32_e64 v19, s[0:1], v19, v1, s[0:1]
	v_cmp_le_i32_e64 s[0:1], s12, v6
	v_add_u32_e32 v0, 16, v0
	s_or_b64 s[10:11], s[0:1], s[10:11]
	v_add_u32_e32 v2, -16, v2
	s_andn2_b64 exec, exec, s[10:11]
	s_cbranch_execz .LBB4_22
.LBB4_13:                               ; =>This Inner Loop Header: Depth=1
	s_and_saveexec_b64 s[16:17], vcc
	s_cbranch_execz .LBB4_12
; %bb.14:                               ;   in Loop: Header=BB4_13 Depth=1
	v_cmp_le_i32_e64 s[0:1], v15, v6
	s_mov_b64 s[18:19], 0
                                        ; implicit-def: $vgpr8_vgpr9
	s_and_saveexec_b64 s[22:23], s[0:1]
	s_xor_b64 s[22:23], exec, s[22:23]
; %bb.15:                               ;   in Loop: Header=BB4_13 Depth=1
	v_lshlrev_b64 v[8:9], 3, v[2:3]
	v_add_co_u32_e64 v8, s[0:1], v18, v8
	v_addc_co_u32_e64 v9, s[0:1], v19, v9, s[0:1]
	v_cmp_lt_i32_e64 s[0:1], -1, v2
	s_and_b64 s[18:19], s[0:1], exec
; %bb.16:                               ;   in Loop: Header=BB4_13 Depth=1
	s_or_saveexec_b64 s[22:23], s[22:23]
	v_mov_b32_e32 v11, v7
	v_mov_b32_e32 v10, v6
	s_xor_b64 exec, exec, s[22:23]
	s_cbranch_execz .LBB4_20
; %bb.17:                               ;   in Loop: Header=BB4_13 Depth=1
	v_add_u32_e32 v12, v20, v6
	v_cmp_lt_i32_e64 s[0:1], -1, v12
	s_mov_b64 s[28:29], s[18:19]
                                        ; implicit-def: $vgpr8_vgpr9
                                        ; implicit-def: $vgpr10_vgpr11
	s_and_saveexec_b64 s[26:27], s[0:1]
; %bb.18:                               ;   in Loop: Header=BB4_13 Depth=1
	v_mov_b32_e32 v13, v3
	v_lshlrev_b64 v[8:9], 3, v[12:13]
	v_mov_b32_e32 v1, v3
	v_add_co_u32_e64 v8, s[0:1], v16, v8
	v_mov_b32_e32 v11, v1
	v_addc_co_u32_e64 v9, s[0:1], v17, v9, s[0:1]
	s_or_b64 s[28:29], s[18:19], exec
	v_mov_b32_e32 v10, v0
; %bb.19:                               ;   in Loop: Header=BB4_13 Depth=1
	s_or_b64 exec, exec, s[26:27]
	s_andn2_b64 s[0:1], s[18:19], exec
	s_and_b64 s[18:19], s[28:29], exec
	s_or_b64 s[18:19], s[0:1], s[18:19]
.LBB4_20:                               ;   in Loop: Header=BB4_13 Depth=1
	s_or_b64 exec, exec, s[22:23]
	s_and_saveexec_b64 s[22:23], s[18:19]
	s_cbranch_execz .LBB4_11
; %bb.21:                               ;   in Loop: Header=BB4_13 Depth=1
	v_mul_lo_u32 v1, v11, s8
	v_mul_lo_u32 v12, v10, s9
	v_mad_u64_u32 v[10:11], s[0:1], v10, s8, 0
	global_load_dwordx2 v[8:9], v[8:9], off
	v_add3_u32 v11, v11, v12, v1
	v_lshlrev_b64 v[10:11], 3, v[10:11]
	v_mov_b32_e32 v1, s35
	v_add_co_u32_e64 v10, s[0:1], s34, v10
	v_addc_co_u32_e64 v11, s[0:1], v1, v11, s[0:1]
	global_load_dwordx2 v[10:11], v[10:11], off
	s_waitcnt vmcnt(0)
	v_fma_f64 v[4:5], v[8:9], v[10:11], v[4:5]
	s_branch .LBB4_11
.LBB4_22:
	s_or_b64 exec, exec, s[10:11]
.LBB4_23:
	s_or_b64 exec, exec, s[14:15]
	v_lshlrev_b32_e32 v6, 3, v14
	ds_write_b64 v6, v[4:5]
	v_add_u32_e32 v4, s33, v14
	v_cmp_gt_u32_e32 vcc, 64, v14
	v_cmp_gt_i32_e64 s[0:1], s12, v4
	s_and_b64 s[6:7], vcc, s[0:1]
	s_waitcnt lgkmcnt(0)
	s_barrier
                                        ; implicit-def: $vgpr0_vgpr1
                                        ; implicit-def: $vgpr2_vgpr3
	s_and_saveexec_b64 s[0:1], s[6:7]
	s_cbranch_execz .LBB4_27
; %bb.24:
	ds_read2st64_b64 v[0:3], v6 offset1:1
	ds_read2st64_b64 v[7:10], v6 offset0:2 offset1:3
	v_cmp_eq_f64_e64 s[6:7], s[2:3], 0
	v_mul_lo_u32 v5, s21, v4
	s_waitcnt lgkmcnt(1)
	v_add_f64 v[0:1], v[0:1], v[2:3]
	s_and_b64 vcc, exec, s[6:7]
	s_waitcnt lgkmcnt(0)
	v_add_f64 v[0:1], v[7:8], v[0:1]
	v_add_f64 v[11:12], v[9:10], v[0:1]
	ds_read2st64_b64 v[0:3], v6 offset0:4 offset1:5
	ds_read2st64_b64 v[7:10], v6 offset0:6 offset1:7
	s_waitcnt lgkmcnt(1)
	v_add_f64 v[0:1], v[0:1], v[11:12]
	v_add_f64 v[0:1], v[2:3], v[0:1]
	s_waitcnt lgkmcnt(0)
	v_add_f64 v[0:1], v[7:8], v[0:1]
	v_add_f64 v[11:12], v[9:10], v[0:1]
	ds_read2st64_b64 v[0:3], v6 offset0:8 offset1:9
	ds_read2st64_b64 v[7:10], v6 offset0:10 offset1:11
	s_waitcnt lgkmcnt(1)
	v_add_f64 v[0:1], v[0:1], v[11:12]
	v_add_f64 v[0:1], v[2:3], v[0:1]
	;; [unrolled: 8-line block ×3, first 2 shown]
	v_mad_u64_u32 v[2:3], s[8:9], s20, v4, 0
	s_waitcnt lgkmcnt(0)
	v_add_f64 v[0:1], v[7:8], v[0:1]
	v_add_f64 v[7:8], v[9:10], v[0:1]
	v_ashrrev_i32_e32 v0, 31, v4
	v_mul_lo_u32 v9, s20, v0
	v_add3_u32 v3, v3, v9, v5
	v_mul_f64 v[0:1], s[24:25], v[7:8]
	ds_write_b64 v6, v[7:8]
	s_cbranch_vccnz .LBB4_26
; %bb.25:
	v_lshlrev_b64 v[4:5], 3, v[2:3]
	v_mov_b32_e32 v6, s31
	v_add_co_u32_e32 v4, vcc, s30, v4
	v_addc_co_u32_e32 v5, vcc, v6, v5, vcc
	global_load_dwordx2 v[4:5], v[4:5], off
	s_waitcnt vmcnt(0)
	v_fma_f64 v[0:1], s[2:3], v[4:5], v[0:1]
.LBB4_26:
	s_or_b64 s[4:5], s[4:5], exec
.LBB4_27:
	s_or_b64 exec, exec, s[0:1]
.LBB4_28:
	s_and_saveexec_b64 s[0:1], s[4:5]
	s_cbranch_execz .LBB4_30
; %bb.29:
	v_lshlrev_b64 v[2:3], 3, v[2:3]
	v_mov_b32_e32 v4, s31
	v_add_co_u32_e32 v2, vcc, s30, v2
	v_addc_co_u32_e32 v3, vcc, v4, v3, vcc
	global_store_dwordx2 v[2:3], v[0:1], off
.LBB4_30:
	s_endpgm
	.section	.rodata,"a",@progbits
	.p2align	6, 0x0
	.amdhsa_kernel _ZL19rocblas_sbmv_kernelILb1ELi64ELi16EPKdS1_PdEviiT2_lT3_lllS4_lllS3_lT4_llli
		.amdhsa_group_segment_fixed_size 8192
		.amdhsa_private_segment_fixed_size 0
		.amdhsa_kernarg_size 400
		.amdhsa_user_sgpr_count 6
		.amdhsa_user_sgpr_private_segment_buffer 1
		.amdhsa_user_sgpr_dispatch_ptr 0
		.amdhsa_user_sgpr_queue_ptr 0
		.amdhsa_user_sgpr_kernarg_segment_ptr 1
		.amdhsa_user_sgpr_dispatch_id 0
		.amdhsa_user_sgpr_flat_scratch_init 0
		.amdhsa_user_sgpr_private_segment_size 0
		.amdhsa_uses_dynamic_stack 0
		.amdhsa_system_sgpr_private_segment_wavefront_offset 0
		.amdhsa_system_sgpr_workgroup_id_x 1
		.amdhsa_system_sgpr_workgroup_id_y 0
		.amdhsa_system_sgpr_workgroup_id_z 1
		.amdhsa_system_sgpr_workgroup_info 0
		.amdhsa_system_vgpr_workitem_id 1
		.amdhsa_next_free_vgpr 29
		.amdhsa_next_free_sgpr 61
		.amdhsa_reserve_vcc 1
		.amdhsa_reserve_flat_scratch 0
		.amdhsa_float_round_mode_32 0
		.amdhsa_float_round_mode_16_64 0
		.amdhsa_float_denorm_mode_32 3
		.amdhsa_float_denorm_mode_16_64 3
		.amdhsa_dx10_clamp 1
		.amdhsa_ieee_mode 1
		.amdhsa_fp16_overflow 0
		.amdhsa_exception_fp_ieee_invalid_op 0
		.amdhsa_exception_fp_denorm_src 0
		.amdhsa_exception_fp_ieee_div_zero 0
		.amdhsa_exception_fp_ieee_overflow 0
		.amdhsa_exception_fp_ieee_underflow 0
		.amdhsa_exception_fp_ieee_inexact 0
		.amdhsa_exception_int_div_zero 0
	.end_amdhsa_kernel
	.section	.text._ZL19rocblas_sbmv_kernelILb1ELi64ELi16EPKdS1_PdEviiT2_lT3_lllS4_lllS3_lT4_llli,"axG",@progbits,_ZL19rocblas_sbmv_kernelILb1ELi64ELi16EPKdS1_PdEviiT2_lT3_lllS4_lllS3_lT4_llli,comdat
.Lfunc_end4:
	.size	_ZL19rocblas_sbmv_kernelILb1ELi64ELi16EPKdS1_PdEviiT2_lT3_lllS4_lllS3_lT4_llli, .Lfunc_end4-_ZL19rocblas_sbmv_kernelILb1ELi64ELi16EPKdS1_PdEviiT2_lT3_lllS4_lllS3_lT4_llli
                                        ; -- End function
	.set _ZL19rocblas_sbmv_kernelILb1ELi64ELi16EPKdS1_PdEviiT2_lT3_lllS4_lllS3_lT4_llli.num_vgpr, 21
	.set _ZL19rocblas_sbmv_kernelILb1ELi64ELi16EPKdS1_PdEviiT2_lT3_lllS4_lllS3_lT4_llli.num_agpr, 0
	.set _ZL19rocblas_sbmv_kernelILb1ELi64ELi16EPKdS1_PdEviiT2_lT3_lllS4_lllS3_lT4_llli.numbered_sgpr, 52
	.set _ZL19rocblas_sbmv_kernelILb1ELi64ELi16EPKdS1_PdEviiT2_lT3_lllS4_lllS3_lT4_llli.num_named_barrier, 0
	.set _ZL19rocblas_sbmv_kernelILb1ELi64ELi16EPKdS1_PdEviiT2_lT3_lllS4_lllS3_lT4_llli.private_seg_size, 0
	.set _ZL19rocblas_sbmv_kernelILb1ELi64ELi16EPKdS1_PdEviiT2_lT3_lllS4_lllS3_lT4_llli.uses_vcc, 1
	.set _ZL19rocblas_sbmv_kernelILb1ELi64ELi16EPKdS1_PdEviiT2_lT3_lllS4_lllS3_lT4_llli.uses_flat_scratch, 0
	.set _ZL19rocblas_sbmv_kernelILb1ELi64ELi16EPKdS1_PdEviiT2_lT3_lllS4_lllS3_lT4_llli.has_dyn_sized_stack, 0
	.set _ZL19rocblas_sbmv_kernelILb1ELi64ELi16EPKdS1_PdEviiT2_lT3_lllS4_lllS3_lT4_llli.has_recursion, 0
	.set _ZL19rocblas_sbmv_kernelILb1ELi64ELi16EPKdS1_PdEviiT2_lT3_lllS4_lllS3_lT4_llli.has_indirect_call, 0
	.section	.AMDGPU.csdata,"",@progbits
; Kernel info:
; codeLenInByte = 1500
; TotalNumSgprs: 56
; NumVgprs: 21
; ScratchSize: 0
; MemoryBound: 1
; FloatMode: 240
; IeeeMode: 1
; LDSByteSize: 8192 bytes/workgroup (compile time only)
; SGPRBlocks: 8
; VGPRBlocks: 7
; NumSGPRsForWavesPerEU: 65
; NumVGPRsForWavesPerEU: 29
; Occupancy: 8
; WaveLimiterHint : 0
; COMPUTE_PGM_RSRC2:SCRATCH_EN: 0
; COMPUTE_PGM_RSRC2:USER_SGPR: 6
; COMPUTE_PGM_RSRC2:TRAP_HANDLER: 0
; COMPUTE_PGM_RSRC2:TGID_X_EN: 1
; COMPUTE_PGM_RSRC2:TGID_Y_EN: 0
; COMPUTE_PGM_RSRC2:TGID_Z_EN: 1
; COMPUTE_PGM_RSRC2:TIDIG_COMP_CNT: 1
	.section	.text._ZL19rocblas_sbmv_kernelILb0ELi64ELi16EPKdS1_PdEviiT2_lT3_lllS4_lllS3_lT4_llli,"axG",@progbits,_ZL19rocblas_sbmv_kernelILb0ELi64ELi16EPKdS1_PdEviiT2_lT3_lllS4_lllS3_lT4_llli,comdat
	.globl	_ZL19rocblas_sbmv_kernelILb0ELi64ELi16EPKdS1_PdEviiT2_lT3_lllS4_lllS3_lT4_llli ; -- Begin function _ZL19rocblas_sbmv_kernelILb0ELi64ELi16EPKdS1_PdEviiT2_lT3_lllS4_lllS3_lT4_llli
	.p2align	8
	.type	_ZL19rocblas_sbmv_kernelILb0ELi64ELi16EPKdS1_PdEviiT2_lT3_lllS4_lllS3_lT4_llli,@function
_ZL19rocblas_sbmv_kernelILb0ELi64ELi16EPKdS1_PdEviiT2_lT3_lllS4_lllS3_lT4_llli: ; @_ZL19rocblas_sbmv_kernelILb0ELi64ELi16EPKdS1_PdEviiT2_lT3_lllS4_lllS3_lT4_llli
; %bb.0:
	s_load_dwordx2 s[0:1], s[4:5], 0x9c
	s_waitcnt lgkmcnt(0)
	s_lshr_b32 s2, s0, 16
	s_and_b32 s0, s0, 0xffff
	s_and_b32 s1, s1, 0xffff
	s_mul_i32 s2, s2, s0
	s_mul_i32 s2, s2, s1
	s_cmpk_lg_i32 s2, 0x400
	s_cbranch_scc1 .LBB5_30
; %bb.1:
	s_load_dwordx16 s[36:51], s[4:5], 0x8
	s_load_dwordx16 s[8:23], s[4:5], 0x48
	s_waitcnt lgkmcnt(0)
	s_mul_i32 s1, s39, s7
	s_mul_hi_u32 s3, s38, s7
	s_mul_i32 s2, s38, s7
	s_add_i32 s3, s3, s1
	s_lshl_b64 s[2:3], s[2:3], 3
	s_add_u32 s2, s36, s2
	s_mul_i32 s15, s15, s7
	s_addc_u32 s3, s37, s3
	s_mul_hi_u32 s1, s14, s7
	s_load_dwordx2 s[24:25], s[2:3], 0x0
	s_add_i32 s3, s1, s15
	s_mul_i32 s2, s14, s7
	s_lshl_b64 s[2:3], s[2:3], 3
	s_add_u32 s2, s12, s2
	s_addc_u32 s3, s13, s3
	s_load_dwordx2 s[2:3], s[2:3], 0x0
	s_waitcnt lgkmcnt(0)
	v_cmp_eq_f64_e64 s[12:13], s[24:25], 0
	v_cmp_eq_f64_e64 s[14:15], s[2:3], 1.0
	s_and_b64 s[12:13], s[12:13], s[14:15]
	s_and_b64 vcc, exec, s[12:13]
	s_cbranch_vccnz .LBB5_30
; %bb.2:
	v_cmp_neq_f64_e64 s[14:15], s[24:25], 0
	s_load_dwordx2 s[12:13], s[4:5], 0x0
	s_mul_i32 s1, s23, s7
	s_mul_hi_u32 s4, s22, s7
	s_add_i32 s5, s4, s1
	s_mul_i32 s4, s22, s7
	s_lshl_b64 s[4:5], s[4:5], 3
	s_add_u32 s1, s16, s4
	s_addc_u32 s16, s17, s5
	s_lshl_b64 s[4:5], s[18:19], 3
	s_add_u32 s28, s1, s4
	v_mad_u32_u24 v12, v1, s0, v0
	s_addc_u32 s29, s16, s5
	s_mov_b64 s[4:5], 0
	s_and_b64 vcc, exec, s[14:15]
	v_cmp_gt_u32_e64 s[0:1], 64, v12
	s_cbranch_vccnz .LBB5_7
; %bb.3:
	v_lshl_add_u32 v4, s6, 6, v12
	s_waitcnt lgkmcnt(0)
	v_cmp_gt_i32_e32 vcc, s12, v4
	s_and_b64 s[16:17], s[0:1], vcc
	s_mov_b64 s[0:1], 0
                                        ; implicit-def: $vgpr0_vgpr1
                                        ; implicit-def: $vgpr2_vgpr3
	s_and_saveexec_b64 s[14:15], s[16:17]
	s_cbranch_execz .LBB5_8
; %bb.4:
	v_cmp_eq_f64_e64 s[4:5], s[2:3], 0
	v_ashrrev_i32_e32 v0, 31, v4
	v_mul_lo_u32 v5, s21, v4
	v_mul_lo_u32 v6, s20, v0
	v_mad_u64_u32 v[2:3], s[16:17], s20, v4, 0
	v_mov_b32_e32 v0, 0
	v_mov_b32_e32 v1, 0
	v_add3_u32 v3, v3, v6, v5
	s_and_b64 vcc, exec, s[4:5]
	s_cbranch_vccnz .LBB5_6
; %bb.5:
	v_lshlrev_b64 v[0:1], 3, v[2:3]
	v_mov_b32_e32 v4, s29
	v_add_co_u32_e32 v0, vcc, s28, v0
	v_addc_co_u32_e32 v1, vcc, v4, v1, vcc
	global_load_dwordx2 v[0:1], v[0:1], off
	s_waitcnt vmcnt(0)
	v_mul_f64 v[0:1], s[2:3], v[0:1]
.LBB5_6:
	s_mov_b64 s[4:5], exec
	s_or_b64 exec, exec, s[14:15]
	s_and_b64 vcc, exec, s[0:1]
	s_cbranch_vccnz .LBB5_9
	s_branch .LBB5_28
.LBB5_7:
                                        ; implicit-def: $vgpr0_vgpr1
                                        ; implicit-def: $vgpr2_vgpr3
	s_cbranch_execnz .LBB5_9
	s_branch .LBB5_28
.LBB5_8:
	s_or_b64 exec, exec, s[14:15]
	s_and_b64 vcc, exec, s[0:1]
	s_cbranch_vccz .LBB5_28
.LBB5_9:
	v_lshrrev_b32_e32 v0, 6, v12
	v_mov_b32_e32 v2, 0
	s_lshl_b32 s30, s6, 6
	v_mov_b32_e32 v3, 0
	s_waitcnt lgkmcnt(0)
	v_cmp_gt_i32_e32 vcc, s12, v0
	s_and_saveexec_b64 s[14:15], vcc
	s_cbranch_execz .LBB5_23
; %bb.10:
	s_mul_i32 s0, s47, s7
	s_mul_hi_u32 s1, s46, s7
	s_add_i32 s1, s1, s0
	s_mul_i32 s0, s46, s7
	s_lshl_b64 s[0:1], s[0:1], 3
	s_add_u32 s6, s40, s0
	s_addc_u32 s18, s41, s1
	s_lshl_b64 s[16:17], s[42:43], 3
	s_add_u32 s19, s6, s16
	s_mul_i32 s6, s11, s7
	s_mul_hi_u32 s11, s10, s7
	s_addc_u32 s18, s18, s17
	s_add_i32 s11, s11, s6
	s_mul_i32 s10, s10, s7
	s_lshl_b64 s[6:7], s[10:11], 3
	s_add_u32 s10, s48, s6
	v_and_b32_e32 v6, 63, v12
	s_addc_u32 s11, s49, s7
	s_lshl_b64 s[6:7], s[50:51], 3
	v_or_b32_e32 v13, s30, v6
	s_add_u32 s31, s10, s6
	s_addc_u32 s33, s11, s7
	v_mul_lo_u32 v3, s45, v13
	v_mad_u64_u32 v[1:2], s[6:7], s44, v13, 0
	s_ashr_i32 s6, s30, 31
	s_mul_i32 s6, s44, s6
	v_add3_u32 v2, v2, s6, v3
	s_lshl_b64 s[6:7], s[44:45], 3
	s_add_u32 s6, s6, -8
	s_addc_u32 s7, s7, -1
	s_add_u32 s0, s16, s0
	s_addc_u32 s1, s17, s1
	v_mov_b32_e32 v4, s1
	v_mov_b32_e32 v3, s0
	v_mad_u64_u32 v[3:4], s[0:1], v0, s6, v[3:4]
	v_lshlrev_b64 v[1:2], 3, v[1:2]
	v_mov_b32_e32 v5, s18
	v_add_co_u32_e64 v14, s[0:1], s19, v1
	v_addc_co_u32_e64 v15, s[0:1], v5, v2, s[0:1]
	v_mov_b32_e32 v2, v4
	v_add_u32_e32 v6, s30, v6
	v_mad_u64_u32 v[4:5], s[0:1], v0, s7, v[2:3]
	v_ashrrev_i32_e32 v7, 31, v6
	v_lshlrev_b64 v[7:8], 3, v[6:7]
	v_mov_b32_e32 v5, s41
	v_add_co_u32_e64 v2, s[0:1], v3, v7
	v_addc_co_u32_e64 v3, s[0:1], v4, v8, s[0:1]
	v_add_co_u32_e64 v4, s[0:1], s40, v2
	v_addc_co_u32_e64 v5, s[0:1], v5, v3, s[0:1]
	s_lshl_b64 s[0:1], s[44:45], 7
	v_mov_b32_e32 v1, 0
	s_add_u32 s34, s0, 0xffffff80
	s_addc_u32 s0, s1, -1
	v_sub_u32_e32 v16, 0, v6
	v_sub_u32_e32 v17, v6, v0
	v_mov_b32_e32 v2, 0
	v_mov_b32_e32 v7, v1
	v_cmp_gt_i32_e32 vcc, s12, v13
	v_mov_b32_e32 v3, 0
	s_mov_b64 s[6:7], 0
	v_mov_b32_e32 v18, s0
	v_mov_b32_e32 v6, v0
	s_branch .LBB5_13
.LBB5_11:                               ;   in Loop: Header=BB5_13 Depth=1
	s_or_b64 exec, exec, s[18:19]
.LBB5_12:                               ;   in Loop: Header=BB5_13 Depth=1
	s_or_b64 exec, exec, s[10:11]
	v_add_co_u32_e64 v6, s[0:1], 16, v6
	v_addc_co_u32_e64 v7, s[0:1], 0, v7, s[0:1]
	v_add_co_u32_e64 v4, s[0:1], s34, v4
	v_addc_co_u32_e64 v5, s[0:1], v5, v18, s[0:1]
	v_cmp_le_i32_e64 s[0:1], s12, v6
	v_add_u32_e32 v0, 16, v0
	s_or_b64 s[6:7], s[0:1], s[6:7]
	v_add_u32_e32 v17, -16, v17
	s_andn2_b64 exec, exec, s[6:7]
	s_cbranch_execz .LBB5_22
.LBB5_13:                               ; =>This Inner Loop Header: Depth=1
	s_and_saveexec_b64 s[10:11], vcc
	s_cbranch_execz .LBB5_12
; %bb.14:                               ;   in Loop: Header=BB5_13 Depth=1
	v_cmp_ge_i32_e64 s[0:1], v13, v6
	s_mov_b64 s[16:17], 0
	s_and_saveexec_b64 s[18:19], s[0:1]
	s_xor_b64 s[18:19], exec, s[18:19]
; %bb.15:                               ;   in Loop: Header=BB5_13 Depth=1
	v_cmp_ge_i32_e64 s[0:1], s13, v17
	s_and_b64 s[16:17], s[0:1], exec
; %bb.16:                               ;   in Loop: Header=BB5_13 Depth=1
	s_or_saveexec_b64 s[18:19], s[18:19]
	v_mov_b32_e32 v9, v5
	v_mov_b32_e32 v11, v7
	;; [unrolled: 1-line block ×4, first 2 shown]
	s_xor_b64 exec, exec, s[18:19]
	s_cbranch_execz .LBB5_20
; %bb.17:                               ;   in Loop: Header=BB5_13 Depth=1
	v_add_u32_e32 v8, v16, v6
	v_cmp_ge_i32_e64 s[0:1], s13, v8
	s_mov_b64 s[26:27], s[16:17]
                                        ; implicit-def: $vgpr8_vgpr9
                                        ; implicit-def: $vgpr10_vgpr11
	s_and_saveexec_b64 s[22:23], s[0:1]
; %bb.18:                               ;   in Loop: Header=BB5_13 Depth=1
	v_sub_u32_e32 v8, v0, v13
	v_ashrrev_i32_e32 v9, 31, v8
	v_lshlrev_b64 v[8:9], 3, v[8:9]
	v_mov_b32_e32 v11, v1
	v_add_co_u32_e64 v8, s[0:1], v14, v8
	v_addc_co_u32_e64 v9, s[0:1], v15, v9, s[0:1]
	s_or_b64 s[26:27], s[16:17], exec
	v_mov_b32_e32 v10, v0
; %bb.19:                               ;   in Loop: Header=BB5_13 Depth=1
	s_or_b64 exec, exec, s[22:23]
	s_andn2_b64 s[0:1], s[16:17], exec
	s_and_b64 s[16:17], s[26:27], exec
	s_or_b64 s[16:17], s[0:1], s[16:17]
.LBB5_20:                               ;   in Loop: Header=BB5_13 Depth=1
	s_or_b64 exec, exec, s[18:19]
	s_and_saveexec_b64 s[18:19], s[16:17]
	s_cbranch_execz .LBB5_11
; %bb.21:                               ;   in Loop: Header=BB5_13 Depth=1
	v_mul_lo_u32 v19, v11, s8
	v_mul_lo_u32 v20, v10, s9
	v_mad_u64_u32 v[10:11], s[0:1], v10, s8, 0
	global_load_dwordx2 v[8:9], v[8:9], off
	v_add3_u32 v11, v11, v20, v19
	v_lshlrev_b64 v[10:11], 3, v[10:11]
	v_mov_b32_e32 v19, s33
	v_add_co_u32_e64 v10, s[0:1], s31, v10
	v_addc_co_u32_e64 v11, s[0:1], v19, v11, s[0:1]
	global_load_dwordx2 v[10:11], v[10:11], off
	s_waitcnt vmcnt(0)
	v_fma_f64 v[2:3], v[8:9], v[10:11], v[2:3]
	s_branch .LBB5_11
.LBB5_22:
	s_or_b64 exec, exec, s[6:7]
.LBB5_23:
	s_or_b64 exec, exec, s[14:15]
	v_add_u32_e32 v5, s30, v12
	v_cmp_gt_u32_e32 vcc, 64, v12
	v_cmp_gt_i32_e64 s[0:1], s12, v5
	v_lshlrev_b32_e32 v4, 3, v12
	s_and_b64 s[6:7], vcc, s[0:1]
	ds_write_b64 v4, v[2:3]
	s_waitcnt lgkmcnt(0)
	s_barrier
                                        ; implicit-def: $vgpr0_vgpr1
                                        ; implicit-def: $vgpr2_vgpr3
	s_and_saveexec_b64 s[0:1], s[6:7]
	s_cbranch_execz .LBB5_27
; %bb.24:
	ds_read2st64_b64 v[0:3], v4 offset1:1
	ds_read2st64_b64 v[6:9], v4 offset0:2 offset1:3
	v_cmp_eq_f64_e64 s[6:7], s[2:3], 0
	s_waitcnt lgkmcnt(1)
	v_add_f64 v[0:1], v[0:1], v[2:3]
	s_and_b64 vcc, exec, s[6:7]
	s_waitcnt lgkmcnt(0)
	v_add_f64 v[0:1], v[6:7], v[0:1]
	v_add_f64 v[10:11], v[8:9], v[0:1]
	ds_read2st64_b64 v[0:3], v4 offset0:4 offset1:5
	ds_read2st64_b64 v[6:9], v4 offset0:6 offset1:7
	s_waitcnt lgkmcnt(1)
	v_add_f64 v[0:1], v[0:1], v[10:11]
	v_add_f64 v[0:1], v[2:3], v[0:1]
	s_waitcnt lgkmcnt(0)
	v_add_f64 v[0:1], v[6:7], v[0:1]
	v_add_f64 v[10:11], v[8:9], v[0:1]
	ds_read2st64_b64 v[0:3], v4 offset0:8 offset1:9
	ds_read2st64_b64 v[6:9], v4 offset0:10 offset1:11
	s_waitcnt lgkmcnt(1)
	v_add_f64 v[0:1], v[0:1], v[10:11]
	v_add_f64 v[0:1], v[2:3], v[0:1]
	;; [unrolled: 8-line block ×3, first 2 shown]
	v_mad_u64_u32 v[2:3], s[8:9], s20, v5, 0
	s_waitcnt lgkmcnt(0)
	v_add_f64 v[0:1], v[6:7], v[0:1]
	v_add_f64 v[6:7], v[8:9], v[0:1]
	v_ashrrev_i32_e32 v0, 31, v5
	v_mul_lo_u32 v9, s20, v0
	v_mul_lo_u32 v8, s21, v5
	v_add3_u32 v3, v3, v9, v8
	v_mul_f64 v[0:1], s[24:25], v[6:7]
	ds_write_b64 v4, v[6:7]
	s_cbranch_vccnz .LBB5_26
; %bb.25:
	v_lshlrev_b64 v[4:5], 3, v[2:3]
	v_mov_b32_e32 v6, s29
	v_add_co_u32_e32 v4, vcc, s28, v4
	v_addc_co_u32_e32 v5, vcc, v6, v5, vcc
	global_load_dwordx2 v[4:5], v[4:5], off
	s_waitcnt vmcnt(0)
	v_fma_f64 v[0:1], s[2:3], v[4:5], v[0:1]
.LBB5_26:
	s_or_b64 s[4:5], s[4:5], exec
.LBB5_27:
	s_or_b64 exec, exec, s[0:1]
.LBB5_28:
	s_and_saveexec_b64 s[0:1], s[4:5]
	s_cbranch_execz .LBB5_30
; %bb.29:
	v_lshlrev_b64 v[2:3], 3, v[2:3]
	v_mov_b32_e32 v4, s29
	v_add_co_u32_e32 v2, vcc, s28, v2
	v_addc_co_u32_e32 v3, vcc, v4, v3, vcc
	global_store_dwordx2 v[2:3], v[0:1], off
.LBB5_30:
	s_endpgm
	.section	.rodata,"a",@progbits
	.p2align	6, 0x0
	.amdhsa_kernel _ZL19rocblas_sbmv_kernelILb0ELi64ELi16EPKdS1_PdEviiT2_lT3_lllS4_lllS3_lT4_llli
		.amdhsa_group_segment_fixed_size 8192
		.amdhsa_private_segment_fixed_size 0
		.amdhsa_kernarg_size 400
		.amdhsa_user_sgpr_count 6
		.amdhsa_user_sgpr_private_segment_buffer 1
		.amdhsa_user_sgpr_dispatch_ptr 0
		.amdhsa_user_sgpr_queue_ptr 0
		.amdhsa_user_sgpr_kernarg_segment_ptr 1
		.amdhsa_user_sgpr_dispatch_id 0
		.amdhsa_user_sgpr_flat_scratch_init 0
		.amdhsa_user_sgpr_private_segment_size 0
		.amdhsa_uses_dynamic_stack 0
		.amdhsa_system_sgpr_private_segment_wavefront_offset 0
		.amdhsa_system_sgpr_workgroup_id_x 1
		.amdhsa_system_sgpr_workgroup_id_y 0
		.amdhsa_system_sgpr_workgroup_id_z 1
		.amdhsa_system_sgpr_workgroup_info 0
		.amdhsa_system_vgpr_workitem_id 1
		.amdhsa_next_free_vgpr 29
		.amdhsa_next_free_sgpr 61
		.amdhsa_reserve_vcc 1
		.amdhsa_reserve_flat_scratch 0
		.amdhsa_float_round_mode_32 0
		.amdhsa_float_round_mode_16_64 0
		.amdhsa_float_denorm_mode_32 3
		.amdhsa_float_denorm_mode_16_64 3
		.amdhsa_dx10_clamp 1
		.amdhsa_ieee_mode 1
		.amdhsa_fp16_overflow 0
		.amdhsa_exception_fp_ieee_invalid_op 0
		.amdhsa_exception_fp_denorm_src 0
		.amdhsa_exception_fp_ieee_div_zero 0
		.amdhsa_exception_fp_ieee_overflow 0
		.amdhsa_exception_fp_ieee_underflow 0
		.amdhsa_exception_fp_ieee_inexact 0
		.amdhsa_exception_int_div_zero 0
	.end_amdhsa_kernel
	.section	.text._ZL19rocblas_sbmv_kernelILb0ELi64ELi16EPKdS1_PdEviiT2_lT3_lllS4_lllS3_lT4_llli,"axG",@progbits,_ZL19rocblas_sbmv_kernelILb0ELi64ELi16EPKdS1_PdEviiT2_lT3_lllS4_lllS3_lT4_llli,comdat
.Lfunc_end5:
	.size	_ZL19rocblas_sbmv_kernelILb0ELi64ELi16EPKdS1_PdEviiT2_lT3_lllS4_lllS3_lT4_llli, .Lfunc_end5-_ZL19rocblas_sbmv_kernelILb0ELi64ELi16EPKdS1_PdEviiT2_lT3_lllS4_lllS3_lT4_llli
                                        ; -- End function
	.set _ZL19rocblas_sbmv_kernelILb0ELi64ELi16EPKdS1_PdEviiT2_lT3_lllS4_lllS3_lT4_llli.num_vgpr, 21
	.set _ZL19rocblas_sbmv_kernelILb0ELi64ELi16EPKdS1_PdEviiT2_lT3_lllS4_lllS3_lT4_llli.num_agpr, 0
	.set _ZL19rocblas_sbmv_kernelILb0ELi64ELi16EPKdS1_PdEviiT2_lT3_lllS4_lllS3_lT4_llli.numbered_sgpr, 52
	.set _ZL19rocblas_sbmv_kernelILb0ELi64ELi16EPKdS1_PdEviiT2_lT3_lllS4_lllS3_lT4_llli.num_named_barrier, 0
	.set _ZL19rocblas_sbmv_kernelILb0ELi64ELi16EPKdS1_PdEviiT2_lT3_lllS4_lllS3_lT4_llli.private_seg_size, 0
	.set _ZL19rocblas_sbmv_kernelILb0ELi64ELi16EPKdS1_PdEviiT2_lT3_lllS4_lllS3_lT4_llli.uses_vcc, 1
	.set _ZL19rocblas_sbmv_kernelILb0ELi64ELi16EPKdS1_PdEviiT2_lT3_lllS4_lllS3_lT4_llli.uses_flat_scratch, 0
	.set _ZL19rocblas_sbmv_kernelILb0ELi64ELi16EPKdS1_PdEviiT2_lT3_lllS4_lllS3_lT4_llli.has_dyn_sized_stack, 0
	.set _ZL19rocblas_sbmv_kernelILb0ELi64ELi16EPKdS1_PdEviiT2_lT3_lllS4_lllS3_lT4_llli.has_recursion, 0
	.set _ZL19rocblas_sbmv_kernelILb0ELi64ELi16EPKdS1_PdEviiT2_lT3_lllS4_lllS3_lT4_llli.has_indirect_call, 0
	.section	.AMDGPU.csdata,"",@progbits
; Kernel info:
; codeLenInByte = 1516
; TotalNumSgprs: 56
; NumVgprs: 21
; ScratchSize: 0
; MemoryBound: 1
; FloatMode: 240
; IeeeMode: 1
; LDSByteSize: 8192 bytes/workgroup (compile time only)
; SGPRBlocks: 8
; VGPRBlocks: 7
; NumSGPRsForWavesPerEU: 65
; NumVGPRsForWavesPerEU: 29
; Occupancy: 8
; WaveLimiterHint : 0
; COMPUTE_PGM_RSRC2:SCRATCH_EN: 0
; COMPUTE_PGM_RSRC2:USER_SGPR: 6
; COMPUTE_PGM_RSRC2:TRAP_HANDLER: 0
; COMPUTE_PGM_RSRC2:TGID_X_EN: 1
; COMPUTE_PGM_RSRC2:TGID_Y_EN: 0
; COMPUTE_PGM_RSRC2:TGID_Z_EN: 1
; COMPUTE_PGM_RSRC2:TIDIG_COMP_CNT: 1
	.section	.text._ZL19rocblas_sbmv_kernelILb1ELi64ELi16EdPKdPdEviiT2_lT3_lllS4_lllS3_lT4_llli,"axG",@progbits,_ZL19rocblas_sbmv_kernelILb1ELi64ELi16EdPKdPdEviiT2_lT3_lllS4_lllS3_lT4_llli,comdat
	.globl	_ZL19rocblas_sbmv_kernelILb1ELi64ELi16EdPKdPdEviiT2_lT3_lllS4_lllS3_lT4_llli ; -- Begin function _ZL19rocblas_sbmv_kernelILb1ELi64ELi16EdPKdPdEviiT2_lT3_lllS4_lllS3_lT4_llli
	.p2align	8
	.type	_ZL19rocblas_sbmv_kernelILb1ELi64ELi16EdPKdPdEviiT2_lT3_lllS4_lllS3_lT4_llli,@function
_ZL19rocblas_sbmv_kernelILb1ELi64ELi16EdPKdPdEviiT2_lT3_lllS4_lllS3_lT4_llli: ; @_ZL19rocblas_sbmv_kernelILb1ELi64ELi16EdPKdPdEviiT2_lT3_lllS4_lllS3_lT4_llli
; %bb.0:
	s_load_dwordx2 s[0:1], s[4:5], 0x9c
	s_waitcnt lgkmcnt(0)
	s_lshr_b32 s2, s0, 16
	s_and_b32 s0, s0, 0xffff
	s_and_b32 s1, s1, 0xffff
	s_mul_i32 s2, s2, s0
	s_mul_i32 s2, s2, s1
	s_cmpk_lg_i32 s2, 0x400
	s_cbranch_scc1 .LBB6_30
; %bb.1:
	s_load_dwordx2 s[28:29], s[4:5], 0x8
	s_load_dwordx2 s[2:3], s[4:5], 0x58
	s_waitcnt lgkmcnt(0)
	v_cmp_eq_f64_e64 s[8:9], s[28:29], 0
	v_cmp_eq_f64_e64 s[10:11], s[2:3], 1.0
	s_and_b64 s[8:9], s[8:9], s[10:11]
	s_and_b64 vcc, exec, s[8:9]
	s_cbranch_vccnz .LBB6_30
; %bb.2:
	s_load_dwordx8 s[20:27], s[4:5], 0x68
	s_load_dwordx2 s[30:31], s[4:5], 0x0
	v_cmp_neq_f64_e64 s[8:9], s[28:29], 0
	v_mad_u32_u24 v14, v1, s0, v0
	s_waitcnt lgkmcnt(0)
	s_mul_i32 s1, s27, s7
	s_mul_hi_u32 s11, s26, s7
	s_mul_i32 s10, s26, s7
	s_add_i32 s11, s11, s1
	s_lshl_b64 s[10:11], s[10:11], 3
	s_add_u32 s1, s20, s10
	s_addc_u32 s12, s21, s11
	s_lshl_b64 s[10:11], s[22:23], 3
	s_add_u32 s33, s1, s10
	s_addc_u32 s36, s12, s11
	s_mov_b64 s[26:27], 0
	s_and_b64 vcc, exec, s[8:9]
	v_cmp_gt_u32_e64 s[0:1], 64, v14
	s_cbranch_vccnz .LBB6_7
; %bb.3:
	v_lshl_add_u32 v4, s6, 6, v14
	v_cmp_gt_i32_e32 vcc, s30, v4
	s_and_b64 s[10:11], s[0:1], vcc
	s_mov_b64 s[0:1], 0
                                        ; implicit-def: $vgpr0_vgpr1
                                        ; implicit-def: $vgpr2_vgpr3
	s_and_saveexec_b64 s[8:9], s[10:11]
	s_cbranch_execz .LBB6_8
; %bb.4:
	v_cmp_eq_f64_e64 s[10:11], s[2:3], 0
	v_ashrrev_i32_e32 v0, 31, v4
	v_mul_lo_u32 v5, s25, v4
	v_mul_lo_u32 v6, s24, v0
	v_mad_u64_u32 v[2:3], s[12:13], s24, v4, 0
	v_mov_b32_e32 v0, 0
	v_mov_b32_e32 v1, 0
	v_add3_u32 v3, v3, v6, v5
	s_and_b64 vcc, exec, s[10:11]
	s_cbranch_vccnz .LBB6_6
; %bb.5:
	v_lshlrev_b64 v[0:1], 3, v[2:3]
	v_mov_b32_e32 v4, s36
	v_add_co_u32_e32 v0, vcc, s33, v0
	v_addc_co_u32_e32 v1, vcc, v4, v1, vcc
	global_load_dwordx2 v[0:1], v[0:1], off
	s_waitcnt vmcnt(0)
	v_mul_f64 v[0:1], s[2:3], v[0:1]
.LBB6_6:
	s_mov_b64 s[26:27], exec
	s_or_b64 exec, exec, s[8:9]
	s_and_b64 vcc, exec, s[0:1]
	s_cbranch_vccnz .LBB6_9
	s_branch .LBB6_28
.LBB6_7:
                                        ; implicit-def: $vgpr0_vgpr1
                                        ; implicit-def: $vgpr2_vgpr3
	s_cbranch_execnz .LBB6_9
	s_branch .LBB6_28
.LBB6_8:
	s_or_b64 exec, exec, s[8:9]
	s_and_b64 vcc, exec, s[0:1]
	s_cbranch_vccz .LBB6_28
.LBB6_9:
	v_lshrrev_b32_e32 v0, 6, v14
	v_mov_b32_e32 v4, 0
	s_lshl_b32 s37, s6, 6
	v_mov_b32_e32 v5, 0
	v_cmp_gt_i32_e32 vcc, s30, v0
	s_and_saveexec_b64 s[34:35], vcc
	s_cbranch_execz .LBB6_23
; %bb.10:
	s_load_dwordx16 s[8:23], s[4:5], 0x18
	v_and_b32_e32 v7, 63, v14
	v_or_b32_e32 v15, s37, v7
	v_cmp_gt_i32_e32 vcc, s30, v15
	s_waitcnt lgkmcnt(0)
	s_mul_i32 s1, s15, s7
	s_mul_hi_u32 s4, s14, s7
	s_mul_i32 s0, s14, s7
	s_add_i32 s1, s4, s1
	s_lshl_b64 s[4:5], s[0:1], 3
	s_add_u32 s0, s8, s4
	s_addc_u32 s1, s9, s5
	s_lshl_b64 s[10:11], s[10:11], 3
	s_add_u32 s6, s0, s10
	s_addc_u32 s14, s1, s11
	s_mul_i32 s0, s23, s7
	s_mul_hi_u32 s1, s22, s7
	s_add_i32 s1, s1, s0
	s_mul_i32 s0, s22, s7
	s_lshl_b64 s[0:1], s[0:1], 3
	s_add_u32 s7, s16, s0
	s_addc_u32 s15, s17, s1
	s_lshl_b64 s[0:1], s[18:19], 3
	s_add_u32 s18, s7, s0
	s_addc_u32 s19, s15, s1
	v_mul_lo_u32 v3, s13, v15
	v_mad_u64_u32 v[1:2], s[0:1], s12, v15, 0
	v_mad_u64_u32 v[4:5], s[0:1], s12, v0, 0
	s_ashr_i32 s7, s37, 31
	s_mul_i32 s7, s12, s7
	v_add3_u32 v2, v2, s7, v3
	v_lshlrev_b64 v[1:2], 3, v[1:2]
	v_mov_b32_e32 v3, v5
	v_mad_u64_u32 v[5:6], s[0:1], s13, v0, v[3:4]
	v_mov_b32_e32 v8, s14
	v_add_co_u32_e64 v16, s[0:1], s6, v1
	v_addc_co_u32_e64 v17, s[0:1], v8, v2, s[0:1]
	s_add_u32 s0, s8, s10
	s_addc_u32 s1, s9, s11
	v_lshlrev_b64 v[4:5], 3, v[4:5]
	s_add_u32 s0, s0, s4
	s_addc_u32 s1, s1, s5
	v_mov_b32_e32 v2, s1
	v_add_co_u32_e64 v18, s[0:1], s0, v4
	v_mov_b32_e32 v3, 0
	v_addc_co_u32_e64 v19, s[0:1], v2, v5, s[0:1]
	v_mov_b32_e32 v1, v3
	s_add_i32 s0, s31, s37
	v_sub_u32_e32 v4, s31, v7
	v_add_u32_e32 v2, s0, v7
	v_subrev_u32_e32 v20, s37, v4
	v_mov_b32_e32 v4, 0
	v_mov_b32_e32 v7, v1
	s_lshl_b64 s[4:5], s[12:13], 7
	v_sub_u32_e32 v2, v2, v0
	v_mov_b32_e32 v5, 0
	s_mov_b64 s[6:7], 0
	v_mov_b32_e32 v6, v0
	s_branch .LBB6_13
.LBB6_11:                               ;   in Loop: Header=BB6_13 Depth=1
	s_or_b64 exec, exec, s[12:13]
.LBB6_12:                               ;   in Loop: Header=BB6_13 Depth=1
	s_or_b64 exec, exec, s[8:9]
	v_add_co_u32_e64 v6, s[0:1], 16, v6
	v_addc_co_u32_e64 v7, s[0:1], 0, v7, s[0:1]
	v_mov_b32_e32 v1, s5
	v_add_co_u32_e64 v18, s[0:1], s4, v18
	v_addc_co_u32_e64 v19, s[0:1], v19, v1, s[0:1]
	v_cmp_le_i32_e64 s[0:1], s30, v6
	v_add_u32_e32 v0, 16, v0
	s_or_b64 s[6:7], s[0:1], s[6:7]
	v_add_u32_e32 v2, -16, v2
	s_andn2_b64 exec, exec, s[6:7]
	s_cbranch_execz .LBB6_22
.LBB6_13:                               ; =>This Inner Loop Header: Depth=1
	s_and_saveexec_b64 s[8:9], vcc
	s_cbranch_execz .LBB6_12
; %bb.14:                               ;   in Loop: Header=BB6_13 Depth=1
	v_cmp_le_i32_e64 s[0:1], v15, v6
	s_mov_b64 s[10:11], 0
                                        ; implicit-def: $vgpr8_vgpr9
	s_and_saveexec_b64 s[12:13], s[0:1]
	s_xor_b64 s[12:13], exec, s[12:13]
; %bb.15:                               ;   in Loop: Header=BB6_13 Depth=1
	v_lshlrev_b64 v[8:9], 3, v[2:3]
	v_add_co_u32_e64 v8, s[0:1], v18, v8
	v_addc_co_u32_e64 v9, s[0:1], v19, v9, s[0:1]
	v_cmp_lt_i32_e64 s[0:1], -1, v2
	s_and_b64 s[10:11], s[0:1], exec
; %bb.16:                               ;   in Loop: Header=BB6_13 Depth=1
	s_or_saveexec_b64 s[12:13], s[12:13]
	v_mov_b32_e32 v11, v7
	v_mov_b32_e32 v10, v6
	s_xor_b64 exec, exec, s[12:13]
	s_cbranch_execz .LBB6_20
; %bb.17:                               ;   in Loop: Header=BB6_13 Depth=1
	v_add_u32_e32 v12, v20, v6
	v_cmp_lt_i32_e64 s[0:1], -1, v12
	s_mov_b64 s[16:17], s[10:11]
                                        ; implicit-def: $vgpr8_vgpr9
                                        ; implicit-def: $vgpr10_vgpr11
	s_and_saveexec_b64 s[14:15], s[0:1]
; %bb.18:                               ;   in Loop: Header=BB6_13 Depth=1
	v_mov_b32_e32 v13, v3
	v_lshlrev_b64 v[8:9], 3, v[12:13]
	v_mov_b32_e32 v1, v3
	v_add_co_u32_e64 v8, s[0:1], v16, v8
	v_mov_b32_e32 v11, v1
	v_addc_co_u32_e64 v9, s[0:1], v17, v9, s[0:1]
	s_or_b64 s[16:17], s[10:11], exec
	v_mov_b32_e32 v10, v0
; %bb.19:                               ;   in Loop: Header=BB6_13 Depth=1
	s_or_b64 exec, exec, s[14:15]
	s_andn2_b64 s[0:1], s[10:11], exec
	s_and_b64 s[10:11], s[16:17], exec
	s_or_b64 s[10:11], s[0:1], s[10:11]
.LBB6_20:                               ;   in Loop: Header=BB6_13 Depth=1
	s_or_b64 exec, exec, s[12:13]
	s_and_saveexec_b64 s[12:13], s[10:11]
	s_cbranch_execz .LBB6_11
; %bb.21:                               ;   in Loop: Header=BB6_13 Depth=1
	v_mul_lo_u32 v1, v11, s20
	v_mul_lo_u32 v12, v10, s21
	v_mad_u64_u32 v[10:11], s[0:1], v10, s20, 0
	global_load_dwordx2 v[8:9], v[8:9], off
	v_add3_u32 v11, v11, v12, v1
	v_lshlrev_b64 v[10:11], 3, v[10:11]
	v_mov_b32_e32 v1, s19
	v_add_co_u32_e64 v10, s[0:1], s18, v10
	v_addc_co_u32_e64 v11, s[0:1], v1, v11, s[0:1]
	global_load_dwordx2 v[10:11], v[10:11], off
	s_waitcnt vmcnt(0)
	v_fma_f64 v[4:5], v[8:9], v[10:11], v[4:5]
	s_branch .LBB6_11
.LBB6_22:
	s_or_b64 exec, exec, s[6:7]
.LBB6_23:
	s_or_b64 exec, exec, s[34:35]
	v_lshlrev_b32_e32 v6, 3, v14
	ds_write_b64 v6, v[4:5]
	v_add_u32_e32 v4, s37, v14
	v_cmp_gt_u32_e32 vcc, 64, v14
	v_cmp_gt_i32_e64 s[0:1], s30, v4
	s_and_b64 s[4:5], vcc, s[0:1]
	s_waitcnt lgkmcnt(0)
	s_barrier
                                        ; implicit-def: $vgpr0_vgpr1
                                        ; implicit-def: $vgpr2_vgpr3
	s_and_saveexec_b64 s[0:1], s[4:5]
	s_cbranch_execz .LBB6_27
; %bb.24:
	ds_read2st64_b64 v[0:3], v6 offset1:1
	ds_read2st64_b64 v[7:10], v6 offset0:2 offset1:3
	v_cmp_eq_f64_e64 s[4:5], s[2:3], 0
	v_mul_lo_u32 v5, s25, v4
	s_waitcnt lgkmcnt(1)
	v_add_f64 v[0:1], v[0:1], v[2:3]
	s_and_b64 vcc, exec, s[4:5]
	s_waitcnt lgkmcnt(0)
	v_add_f64 v[0:1], v[7:8], v[0:1]
	v_add_f64 v[11:12], v[9:10], v[0:1]
	ds_read2st64_b64 v[0:3], v6 offset0:4 offset1:5
	ds_read2st64_b64 v[7:10], v6 offset0:6 offset1:7
	s_waitcnt lgkmcnt(1)
	v_add_f64 v[0:1], v[0:1], v[11:12]
	v_add_f64 v[0:1], v[2:3], v[0:1]
	s_waitcnt lgkmcnt(0)
	v_add_f64 v[0:1], v[7:8], v[0:1]
	v_add_f64 v[11:12], v[9:10], v[0:1]
	ds_read2st64_b64 v[0:3], v6 offset0:8 offset1:9
	ds_read2st64_b64 v[7:10], v6 offset0:10 offset1:11
	s_waitcnt lgkmcnt(1)
	v_add_f64 v[0:1], v[0:1], v[11:12]
	v_add_f64 v[0:1], v[2:3], v[0:1]
	;; [unrolled: 8-line block ×3, first 2 shown]
	v_mad_u64_u32 v[2:3], s[6:7], s24, v4, 0
	s_waitcnt lgkmcnt(0)
	v_add_f64 v[0:1], v[7:8], v[0:1]
	v_add_f64 v[7:8], v[9:10], v[0:1]
	v_ashrrev_i32_e32 v0, 31, v4
	v_mul_lo_u32 v9, s24, v0
	v_add3_u32 v3, v3, v9, v5
	v_mul_f64 v[0:1], s[28:29], v[7:8]
	ds_write_b64 v6, v[7:8]
	s_cbranch_vccnz .LBB6_26
; %bb.25:
	v_lshlrev_b64 v[4:5], 3, v[2:3]
	v_mov_b32_e32 v6, s36
	v_add_co_u32_e32 v4, vcc, s33, v4
	v_addc_co_u32_e32 v5, vcc, v6, v5, vcc
	global_load_dwordx2 v[4:5], v[4:5], off
	s_waitcnt vmcnt(0)
	v_fma_f64 v[0:1], s[2:3], v[4:5], v[0:1]
.LBB6_26:
	s_or_b64 s[26:27], s[26:27], exec
.LBB6_27:
	s_or_b64 exec, exec, s[0:1]
.LBB6_28:
	s_and_saveexec_b64 s[0:1], s[26:27]
	s_cbranch_execz .LBB6_30
; %bb.29:
	v_lshlrev_b64 v[2:3], 3, v[2:3]
	v_mov_b32_e32 v4, s36
	v_add_co_u32_e32 v2, vcc, s33, v2
	v_addc_co_u32_e32 v3, vcc, v4, v3, vcc
	global_store_dwordx2 v[2:3], v[0:1], off
.LBB6_30:
	s_endpgm
	.section	.rodata,"a",@progbits
	.p2align	6, 0x0
	.amdhsa_kernel _ZL19rocblas_sbmv_kernelILb1ELi64ELi16EdPKdPdEviiT2_lT3_lllS4_lllS3_lT4_llli
		.amdhsa_group_segment_fixed_size 8192
		.amdhsa_private_segment_fixed_size 0
		.amdhsa_kernarg_size 400
		.amdhsa_user_sgpr_count 6
		.amdhsa_user_sgpr_private_segment_buffer 1
		.amdhsa_user_sgpr_dispatch_ptr 0
		.amdhsa_user_sgpr_queue_ptr 0
		.amdhsa_user_sgpr_kernarg_segment_ptr 1
		.amdhsa_user_sgpr_dispatch_id 0
		.amdhsa_user_sgpr_flat_scratch_init 0
		.amdhsa_user_sgpr_private_segment_size 0
		.amdhsa_uses_dynamic_stack 0
		.amdhsa_system_sgpr_private_segment_wavefront_offset 0
		.amdhsa_system_sgpr_workgroup_id_x 1
		.amdhsa_system_sgpr_workgroup_id_y 0
		.amdhsa_system_sgpr_workgroup_id_z 1
		.amdhsa_system_sgpr_workgroup_info 0
		.amdhsa_system_vgpr_workitem_id 1
		.amdhsa_next_free_vgpr 29
		.amdhsa_next_free_sgpr 61
		.amdhsa_reserve_vcc 1
		.amdhsa_reserve_flat_scratch 0
		.amdhsa_float_round_mode_32 0
		.amdhsa_float_round_mode_16_64 0
		.amdhsa_float_denorm_mode_32 3
		.amdhsa_float_denorm_mode_16_64 3
		.amdhsa_dx10_clamp 1
		.amdhsa_ieee_mode 1
		.amdhsa_fp16_overflow 0
		.amdhsa_exception_fp_ieee_invalid_op 0
		.amdhsa_exception_fp_denorm_src 0
		.amdhsa_exception_fp_ieee_div_zero 0
		.amdhsa_exception_fp_ieee_overflow 0
		.amdhsa_exception_fp_ieee_underflow 0
		.amdhsa_exception_fp_ieee_inexact 0
		.amdhsa_exception_int_div_zero 0
	.end_amdhsa_kernel
	.section	.text._ZL19rocblas_sbmv_kernelILb1ELi64ELi16EdPKdPdEviiT2_lT3_lllS4_lllS3_lT4_llli,"axG",@progbits,_ZL19rocblas_sbmv_kernelILb1ELi64ELi16EdPKdPdEviiT2_lT3_lllS4_lllS3_lT4_llli,comdat
.Lfunc_end6:
	.size	_ZL19rocblas_sbmv_kernelILb1ELi64ELi16EdPKdPdEviiT2_lT3_lllS4_lllS3_lT4_llli, .Lfunc_end6-_ZL19rocblas_sbmv_kernelILb1ELi64ELi16EdPKdPdEviiT2_lT3_lllS4_lllS3_lT4_llli
                                        ; -- End function
	.set _ZL19rocblas_sbmv_kernelILb1ELi64ELi16EdPKdPdEviiT2_lT3_lllS4_lllS3_lT4_llli.num_vgpr, 21
	.set _ZL19rocblas_sbmv_kernelILb1ELi64ELi16EdPKdPdEviiT2_lT3_lllS4_lllS3_lT4_llli.num_agpr, 0
	.set _ZL19rocblas_sbmv_kernelILb1ELi64ELi16EdPKdPdEviiT2_lT3_lllS4_lllS3_lT4_llli.numbered_sgpr, 38
	.set _ZL19rocblas_sbmv_kernelILb1ELi64ELi16EdPKdPdEviiT2_lT3_lllS4_lllS3_lT4_llli.num_named_barrier, 0
	.set _ZL19rocblas_sbmv_kernelILb1ELi64ELi16EdPKdPdEviiT2_lT3_lllS4_lllS3_lT4_llli.private_seg_size, 0
	.set _ZL19rocblas_sbmv_kernelILb1ELi64ELi16EdPKdPdEviiT2_lT3_lllS4_lllS3_lT4_llli.uses_vcc, 1
	.set _ZL19rocblas_sbmv_kernelILb1ELi64ELi16EdPKdPdEviiT2_lT3_lllS4_lllS3_lT4_llli.uses_flat_scratch, 0
	.set _ZL19rocblas_sbmv_kernelILb1ELi64ELi16EdPKdPdEviiT2_lT3_lllS4_lllS3_lT4_llli.has_dyn_sized_stack, 0
	.set _ZL19rocblas_sbmv_kernelILb1ELi64ELi16EdPKdPdEviiT2_lT3_lllS4_lllS3_lT4_llli.has_recursion, 0
	.set _ZL19rocblas_sbmv_kernelILb1ELi64ELi16EdPKdPdEviiT2_lT3_lllS4_lllS3_lT4_llli.has_indirect_call, 0
	.section	.AMDGPU.csdata,"",@progbits
; Kernel info:
; codeLenInByte = 1440
; TotalNumSgprs: 42
; NumVgprs: 21
; ScratchSize: 0
; MemoryBound: 1
; FloatMode: 240
; IeeeMode: 1
; LDSByteSize: 8192 bytes/workgroup (compile time only)
; SGPRBlocks: 8
; VGPRBlocks: 7
; NumSGPRsForWavesPerEU: 65
; NumVGPRsForWavesPerEU: 29
; Occupancy: 8
; WaveLimiterHint : 1
; COMPUTE_PGM_RSRC2:SCRATCH_EN: 0
; COMPUTE_PGM_RSRC2:USER_SGPR: 6
; COMPUTE_PGM_RSRC2:TRAP_HANDLER: 0
; COMPUTE_PGM_RSRC2:TGID_X_EN: 1
; COMPUTE_PGM_RSRC2:TGID_Y_EN: 0
; COMPUTE_PGM_RSRC2:TGID_Z_EN: 1
; COMPUTE_PGM_RSRC2:TIDIG_COMP_CNT: 1
	.section	.text._ZL19rocblas_sbmv_kernelILb0ELi64ELi16EdPKdPdEviiT2_lT3_lllS4_lllS3_lT4_llli,"axG",@progbits,_ZL19rocblas_sbmv_kernelILb0ELi64ELi16EdPKdPdEviiT2_lT3_lllS4_lllS3_lT4_llli,comdat
	.globl	_ZL19rocblas_sbmv_kernelILb0ELi64ELi16EdPKdPdEviiT2_lT3_lllS4_lllS3_lT4_llli ; -- Begin function _ZL19rocblas_sbmv_kernelILb0ELi64ELi16EdPKdPdEviiT2_lT3_lllS4_lllS3_lT4_llli
	.p2align	8
	.type	_ZL19rocblas_sbmv_kernelILb0ELi64ELi16EdPKdPdEviiT2_lT3_lllS4_lllS3_lT4_llli,@function
_ZL19rocblas_sbmv_kernelILb0ELi64ELi16EdPKdPdEviiT2_lT3_lllS4_lllS3_lT4_llli: ; @_ZL19rocblas_sbmv_kernelILb0ELi64ELi16EdPKdPdEviiT2_lT3_lllS4_lllS3_lT4_llli
; %bb.0:
	s_load_dwordx2 s[0:1], s[4:5], 0x9c
	s_waitcnt lgkmcnt(0)
	s_lshr_b32 s2, s0, 16
	s_and_b32 s0, s0, 0xffff
	s_and_b32 s1, s1, 0xffff
	s_mul_i32 s2, s2, s0
	s_mul_i32 s2, s2, s1
	s_cmpk_lg_i32 s2, 0x400
	s_cbranch_scc1 .LBB7_30
; %bb.1:
	s_load_dwordx2 s[28:29], s[4:5], 0x8
	s_load_dwordx2 s[2:3], s[4:5], 0x58
	s_waitcnt lgkmcnt(0)
	v_cmp_eq_f64_e64 s[8:9], s[28:29], 0
	v_cmp_eq_f64_e64 s[10:11], s[2:3], 1.0
	s_and_b64 s[8:9], s[8:9], s[10:11]
	s_and_b64 vcc, exec, s[8:9]
	s_cbranch_vccnz .LBB7_30
; %bb.2:
	s_load_dwordx8 s[20:27], s[4:5], 0x68
	s_load_dwordx2 s[30:31], s[4:5], 0x0
	v_cmp_neq_f64_e64 s[8:9], s[28:29], 0
	v_mad_u32_u24 v12, v1, s0, v0
	s_waitcnt lgkmcnt(0)
	s_mul_i32 s1, s27, s7
	s_mul_hi_u32 s11, s26, s7
	s_mul_i32 s10, s26, s7
	s_add_i32 s11, s11, s1
	s_lshl_b64 s[10:11], s[10:11], 3
	s_add_u32 s1, s20, s10
	s_addc_u32 s12, s21, s11
	s_lshl_b64 s[10:11], s[22:23], 3
	s_add_u32 s33, s1, s10
	s_addc_u32 s36, s12, s11
	s_mov_b64 s[26:27], 0
	s_and_b64 vcc, exec, s[8:9]
	v_cmp_gt_u32_e64 s[0:1], 64, v12
	s_cbranch_vccnz .LBB7_7
; %bb.3:
	v_lshl_add_u32 v4, s6, 6, v12
	v_cmp_gt_i32_e32 vcc, s30, v4
	s_and_b64 s[10:11], s[0:1], vcc
	s_mov_b64 s[0:1], 0
                                        ; implicit-def: $vgpr0_vgpr1
                                        ; implicit-def: $vgpr2_vgpr3
	s_and_saveexec_b64 s[8:9], s[10:11]
	s_cbranch_execz .LBB7_8
; %bb.4:
	v_cmp_eq_f64_e64 s[10:11], s[2:3], 0
	v_ashrrev_i32_e32 v0, 31, v4
	v_mul_lo_u32 v5, s25, v4
	v_mul_lo_u32 v6, s24, v0
	v_mad_u64_u32 v[2:3], s[12:13], s24, v4, 0
	v_mov_b32_e32 v0, 0
	v_mov_b32_e32 v1, 0
	v_add3_u32 v3, v3, v6, v5
	s_and_b64 vcc, exec, s[10:11]
	s_cbranch_vccnz .LBB7_6
; %bb.5:
	v_lshlrev_b64 v[0:1], 3, v[2:3]
	v_mov_b32_e32 v4, s36
	v_add_co_u32_e32 v0, vcc, s33, v0
	v_addc_co_u32_e32 v1, vcc, v4, v1, vcc
	global_load_dwordx2 v[0:1], v[0:1], off
	s_waitcnt vmcnt(0)
	v_mul_f64 v[0:1], s[2:3], v[0:1]
.LBB7_6:
	s_mov_b64 s[26:27], exec
	s_or_b64 exec, exec, s[8:9]
	s_and_b64 vcc, exec, s[0:1]
	s_cbranch_vccnz .LBB7_9
	s_branch .LBB7_28
.LBB7_7:
                                        ; implicit-def: $vgpr0_vgpr1
                                        ; implicit-def: $vgpr2_vgpr3
	s_cbranch_execnz .LBB7_9
	s_branch .LBB7_28
.LBB7_8:
	s_or_b64 exec, exec, s[8:9]
	s_and_b64 vcc, exec, s[0:1]
	s_cbranch_vccz .LBB7_28
.LBB7_9:
	v_lshrrev_b32_e32 v0, 6, v12
	v_mov_b32_e32 v2, 0
	s_lshl_b32 s37, s6, 6
	v_mov_b32_e32 v3, 0
	v_cmp_gt_i32_e32 vcc, s30, v0
	s_and_saveexec_b64 s[34:35], vcc
	s_cbranch_execz .LBB7_23
; %bb.10:
	s_load_dwordx16 s[8:23], s[4:5], 0x18
	v_and_b32_e32 v6, 63, v12
	v_or_b32_e32 v13, s37, v6
	v_add_u32_e32 v6, s37, v6
	v_ashrrev_i32_e32 v7, 31, v6
	s_waitcnt lgkmcnt(0)
	s_mul_i32 s1, s15, s7
	s_mul_hi_u32 s4, s14, s7
	s_mul_i32 s0, s14, s7
	s_add_i32 s1, s4, s1
	s_lshl_b64 s[0:1], s[0:1], 3
	s_add_u32 s6, s8, s0
	s_addc_u32 s14, s9, s1
	s_lshl_b64 s[4:5], s[10:11], 3
	s_add_u32 s15, s6, s4
	s_mul_i32 s6, s23, s7
	s_mul_hi_u32 s10, s22, s7
	s_addc_u32 s14, s14, s5
	s_add_i32 s11, s10, s6
	s_mul_i32 s10, s22, s7
	s_lshl_b64 s[6:7], s[10:11], 3
	s_add_u32 s10, s16, s6
	s_addc_u32 s11, s17, s7
	s_lshl_b64 s[6:7], s[18:19], 3
	s_add_u32 s16, s10, s6
	s_addc_u32 s17, s11, s7
	v_mul_lo_u32 v3, s13, v13
	v_mad_u64_u32 v[1:2], s[6:7], s12, v13, 0
	s_ashr_i32 s6, s37, 31
	s_mul_i32 s6, s12, s6
	v_add3_u32 v2, v2, s6, v3
	s_lshl_b64 s[6:7], s[12:13], 3
	s_add_u32 s6, s6, -8
	s_addc_u32 s7, s7, -1
	s_add_u32 s0, s4, s0
	s_addc_u32 s1, s5, s1
	v_mov_b32_e32 v4, s1
	v_mov_b32_e32 v3, s0
	v_mad_u64_u32 v[3:4], s[0:1], v0, s6, v[3:4]
	v_lshlrev_b64 v[1:2], 3, v[1:2]
	v_mov_b32_e32 v5, s14
	v_add_co_u32_e64 v14, s[0:1], s15, v1
	v_addc_co_u32_e64 v15, s[0:1], v5, v2, s[0:1]
	v_mov_b32_e32 v2, v4
	v_mad_u64_u32 v[4:5], s[0:1], v0, s7, v[2:3]
	v_lshlrev_b64 v[7:8], 3, v[6:7]
	v_mov_b32_e32 v5, s9
	v_add_co_u32_e64 v2, s[0:1], v3, v7
	v_addc_co_u32_e64 v3, s[0:1], v4, v8, s[0:1]
	v_add_co_u32_e64 v4, s[0:1], s8, v2
	v_addc_co_u32_e64 v5, s[0:1], v5, v3, s[0:1]
	s_lshl_b64 s[0:1], s[12:13], 7
	v_mov_b32_e32 v1, 0
	s_add_u32 s18, s0, 0xffffff80
	s_addc_u32 s0, s1, -1
	v_sub_u32_e32 v16, 0, v6
	v_sub_u32_e32 v17, v6, v0
	v_mov_b32_e32 v2, 0
	v_mov_b32_e32 v7, v1
	v_cmp_gt_i32_e32 vcc, s30, v13
	v_mov_b32_e32 v3, 0
	s_mov_b64 s[4:5], 0
	v_mov_b32_e32 v18, s0
	v_mov_b32_e32 v6, v0
	s_branch .LBB7_13
.LBB7_11:                               ;   in Loop: Header=BB7_13 Depth=1
	s_or_b64 exec, exec, s[10:11]
.LBB7_12:                               ;   in Loop: Header=BB7_13 Depth=1
	s_or_b64 exec, exec, s[6:7]
	v_add_co_u32_e64 v6, s[0:1], 16, v6
	v_addc_co_u32_e64 v7, s[0:1], 0, v7, s[0:1]
	v_add_co_u32_e64 v4, s[0:1], s18, v4
	v_addc_co_u32_e64 v5, s[0:1], v5, v18, s[0:1]
	v_cmp_le_i32_e64 s[0:1], s30, v6
	v_add_u32_e32 v0, 16, v0
	s_or_b64 s[4:5], s[0:1], s[4:5]
	v_add_u32_e32 v17, -16, v17
	s_andn2_b64 exec, exec, s[4:5]
	s_cbranch_execz .LBB7_22
.LBB7_13:                               ; =>This Inner Loop Header: Depth=1
	s_and_saveexec_b64 s[6:7], vcc
	s_cbranch_execz .LBB7_12
; %bb.14:                               ;   in Loop: Header=BB7_13 Depth=1
	v_cmp_ge_i32_e64 s[0:1], v13, v6
	s_mov_b64 s[8:9], 0
	s_and_saveexec_b64 s[10:11], s[0:1]
	s_xor_b64 s[10:11], exec, s[10:11]
; %bb.15:                               ;   in Loop: Header=BB7_13 Depth=1
	v_cmp_ge_i32_e64 s[0:1], s31, v17
	s_and_b64 s[8:9], s[0:1], exec
; %bb.16:                               ;   in Loop: Header=BB7_13 Depth=1
	s_or_saveexec_b64 s[10:11], s[10:11]
	v_mov_b32_e32 v9, v5
	v_mov_b32_e32 v11, v7
	;; [unrolled: 1-line block ×4, first 2 shown]
	s_xor_b64 exec, exec, s[10:11]
	s_cbranch_execz .LBB7_20
; %bb.17:                               ;   in Loop: Header=BB7_13 Depth=1
	v_add_u32_e32 v8, v16, v6
	v_cmp_ge_i32_e64 s[0:1], s31, v8
	s_mov_b64 s[14:15], s[8:9]
                                        ; implicit-def: $vgpr8_vgpr9
                                        ; implicit-def: $vgpr10_vgpr11
	s_and_saveexec_b64 s[12:13], s[0:1]
; %bb.18:                               ;   in Loop: Header=BB7_13 Depth=1
	v_sub_u32_e32 v8, v0, v13
	v_ashrrev_i32_e32 v9, 31, v8
	v_lshlrev_b64 v[8:9], 3, v[8:9]
	v_mov_b32_e32 v11, v1
	v_add_co_u32_e64 v8, s[0:1], v14, v8
	v_addc_co_u32_e64 v9, s[0:1], v15, v9, s[0:1]
	s_or_b64 s[14:15], s[8:9], exec
	v_mov_b32_e32 v10, v0
; %bb.19:                               ;   in Loop: Header=BB7_13 Depth=1
	s_or_b64 exec, exec, s[12:13]
	s_andn2_b64 s[0:1], s[8:9], exec
	s_and_b64 s[8:9], s[14:15], exec
	s_or_b64 s[8:9], s[0:1], s[8:9]
.LBB7_20:                               ;   in Loop: Header=BB7_13 Depth=1
	s_or_b64 exec, exec, s[10:11]
	s_and_saveexec_b64 s[10:11], s[8:9]
	s_cbranch_execz .LBB7_11
; %bb.21:                               ;   in Loop: Header=BB7_13 Depth=1
	v_mul_lo_u32 v19, v11, s20
	v_mul_lo_u32 v20, v10, s21
	v_mad_u64_u32 v[10:11], s[0:1], v10, s20, 0
	global_load_dwordx2 v[8:9], v[8:9], off
	v_add3_u32 v11, v11, v20, v19
	v_lshlrev_b64 v[10:11], 3, v[10:11]
	v_mov_b32_e32 v19, s17
	v_add_co_u32_e64 v10, s[0:1], s16, v10
	v_addc_co_u32_e64 v11, s[0:1], v19, v11, s[0:1]
	global_load_dwordx2 v[10:11], v[10:11], off
	s_waitcnt vmcnt(0)
	v_fma_f64 v[2:3], v[8:9], v[10:11], v[2:3]
	s_branch .LBB7_11
.LBB7_22:
	s_or_b64 exec, exec, s[4:5]
.LBB7_23:
	s_or_b64 exec, exec, s[34:35]
	v_add_u32_e32 v5, s37, v12
	v_cmp_gt_u32_e32 vcc, 64, v12
	v_cmp_gt_i32_e64 s[0:1], s30, v5
	v_lshlrev_b32_e32 v4, 3, v12
	s_and_b64 s[4:5], vcc, s[0:1]
	ds_write_b64 v4, v[2:3]
	s_waitcnt lgkmcnt(0)
	s_barrier
                                        ; implicit-def: $vgpr0_vgpr1
                                        ; implicit-def: $vgpr2_vgpr3
	s_and_saveexec_b64 s[0:1], s[4:5]
	s_cbranch_execz .LBB7_27
; %bb.24:
	ds_read2st64_b64 v[0:3], v4 offset1:1
	ds_read2st64_b64 v[6:9], v4 offset0:2 offset1:3
	v_cmp_eq_f64_e64 s[4:5], s[2:3], 0
	s_waitcnt lgkmcnt(1)
	v_add_f64 v[0:1], v[0:1], v[2:3]
	s_and_b64 vcc, exec, s[4:5]
	s_waitcnt lgkmcnt(0)
	v_add_f64 v[0:1], v[6:7], v[0:1]
	v_add_f64 v[10:11], v[8:9], v[0:1]
	ds_read2st64_b64 v[0:3], v4 offset0:4 offset1:5
	ds_read2st64_b64 v[6:9], v4 offset0:6 offset1:7
	s_waitcnt lgkmcnt(1)
	v_add_f64 v[0:1], v[0:1], v[10:11]
	v_add_f64 v[0:1], v[2:3], v[0:1]
	s_waitcnt lgkmcnt(0)
	v_add_f64 v[0:1], v[6:7], v[0:1]
	v_add_f64 v[10:11], v[8:9], v[0:1]
	ds_read2st64_b64 v[0:3], v4 offset0:8 offset1:9
	ds_read2st64_b64 v[6:9], v4 offset0:10 offset1:11
	s_waitcnt lgkmcnt(1)
	v_add_f64 v[0:1], v[0:1], v[10:11]
	v_add_f64 v[0:1], v[2:3], v[0:1]
	;; [unrolled: 8-line block ×3, first 2 shown]
	v_mad_u64_u32 v[2:3], s[6:7], s24, v5, 0
	s_waitcnt lgkmcnt(0)
	v_add_f64 v[0:1], v[6:7], v[0:1]
	v_add_f64 v[6:7], v[8:9], v[0:1]
	v_ashrrev_i32_e32 v0, 31, v5
	v_mul_lo_u32 v9, s24, v0
	v_mul_lo_u32 v8, s25, v5
	v_add3_u32 v3, v3, v9, v8
	v_mul_f64 v[0:1], s[28:29], v[6:7]
	ds_write_b64 v4, v[6:7]
	s_cbranch_vccnz .LBB7_26
; %bb.25:
	v_lshlrev_b64 v[4:5], 3, v[2:3]
	v_mov_b32_e32 v6, s36
	v_add_co_u32_e32 v4, vcc, s33, v4
	v_addc_co_u32_e32 v5, vcc, v6, v5, vcc
	global_load_dwordx2 v[4:5], v[4:5], off
	s_waitcnt vmcnt(0)
	v_fma_f64 v[0:1], s[2:3], v[4:5], v[0:1]
.LBB7_26:
	s_or_b64 s[26:27], s[26:27], exec
.LBB7_27:
	s_or_b64 exec, exec, s[0:1]
.LBB7_28:
	s_and_saveexec_b64 s[0:1], s[26:27]
	s_cbranch_execz .LBB7_30
; %bb.29:
	v_lshlrev_b64 v[2:3], 3, v[2:3]
	v_mov_b32_e32 v4, s36
	v_add_co_u32_e32 v2, vcc, s33, v2
	v_addc_co_u32_e32 v3, vcc, v4, v3, vcc
	global_store_dwordx2 v[2:3], v[0:1], off
.LBB7_30:
	s_endpgm
	.section	.rodata,"a",@progbits
	.p2align	6, 0x0
	.amdhsa_kernel _ZL19rocblas_sbmv_kernelILb0ELi64ELi16EdPKdPdEviiT2_lT3_lllS4_lllS3_lT4_llli
		.amdhsa_group_segment_fixed_size 8192
		.amdhsa_private_segment_fixed_size 0
		.amdhsa_kernarg_size 400
		.amdhsa_user_sgpr_count 6
		.amdhsa_user_sgpr_private_segment_buffer 1
		.amdhsa_user_sgpr_dispatch_ptr 0
		.amdhsa_user_sgpr_queue_ptr 0
		.amdhsa_user_sgpr_kernarg_segment_ptr 1
		.amdhsa_user_sgpr_dispatch_id 0
		.amdhsa_user_sgpr_flat_scratch_init 0
		.amdhsa_user_sgpr_private_segment_size 0
		.amdhsa_uses_dynamic_stack 0
		.amdhsa_system_sgpr_private_segment_wavefront_offset 0
		.amdhsa_system_sgpr_workgroup_id_x 1
		.amdhsa_system_sgpr_workgroup_id_y 0
		.amdhsa_system_sgpr_workgroup_id_z 1
		.amdhsa_system_sgpr_workgroup_info 0
		.amdhsa_system_vgpr_workitem_id 1
		.amdhsa_next_free_vgpr 29
		.amdhsa_next_free_sgpr 61
		.amdhsa_reserve_vcc 1
		.amdhsa_reserve_flat_scratch 0
		.amdhsa_float_round_mode_32 0
		.amdhsa_float_round_mode_16_64 0
		.amdhsa_float_denorm_mode_32 3
		.amdhsa_float_denorm_mode_16_64 3
		.amdhsa_dx10_clamp 1
		.amdhsa_ieee_mode 1
		.amdhsa_fp16_overflow 0
		.amdhsa_exception_fp_ieee_invalid_op 0
		.amdhsa_exception_fp_denorm_src 0
		.amdhsa_exception_fp_ieee_div_zero 0
		.amdhsa_exception_fp_ieee_overflow 0
		.amdhsa_exception_fp_ieee_underflow 0
		.amdhsa_exception_fp_ieee_inexact 0
		.amdhsa_exception_int_div_zero 0
	.end_amdhsa_kernel
	.section	.text._ZL19rocblas_sbmv_kernelILb0ELi64ELi16EdPKdPdEviiT2_lT3_lllS4_lllS3_lT4_llli,"axG",@progbits,_ZL19rocblas_sbmv_kernelILb0ELi64ELi16EdPKdPdEviiT2_lT3_lllS4_lllS3_lT4_llli,comdat
.Lfunc_end7:
	.size	_ZL19rocblas_sbmv_kernelILb0ELi64ELi16EdPKdPdEviiT2_lT3_lllS4_lllS3_lT4_llli, .Lfunc_end7-_ZL19rocblas_sbmv_kernelILb0ELi64ELi16EdPKdPdEviiT2_lT3_lllS4_lllS3_lT4_llli
                                        ; -- End function
	.set _ZL19rocblas_sbmv_kernelILb0ELi64ELi16EdPKdPdEviiT2_lT3_lllS4_lllS3_lT4_llli.num_vgpr, 21
	.set _ZL19rocblas_sbmv_kernelILb0ELi64ELi16EdPKdPdEviiT2_lT3_lllS4_lllS3_lT4_llli.num_agpr, 0
	.set _ZL19rocblas_sbmv_kernelILb0ELi64ELi16EdPKdPdEviiT2_lT3_lllS4_lllS3_lT4_llli.numbered_sgpr, 38
	.set _ZL19rocblas_sbmv_kernelILb0ELi64ELi16EdPKdPdEviiT2_lT3_lllS4_lllS3_lT4_llli.num_named_barrier, 0
	.set _ZL19rocblas_sbmv_kernelILb0ELi64ELi16EdPKdPdEviiT2_lT3_lllS4_lllS3_lT4_llli.private_seg_size, 0
	.set _ZL19rocblas_sbmv_kernelILb0ELi64ELi16EdPKdPdEviiT2_lT3_lllS4_lllS3_lT4_llli.uses_vcc, 1
	.set _ZL19rocblas_sbmv_kernelILb0ELi64ELi16EdPKdPdEviiT2_lT3_lllS4_lllS3_lT4_llli.uses_flat_scratch, 0
	.set _ZL19rocblas_sbmv_kernelILb0ELi64ELi16EdPKdPdEviiT2_lT3_lllS4_lllS3_lT4_llli.has_dyn_sized_stack, 0
	.set _ZL19rocblas_sbmv_kernelILb0ELi64ELi16EdPKdPdEviiT2_lT3_lllS4_lllS3_lT4_llli.has_recursion, 0
	.set _ZL19rocblas_sbmv_kernelILb0ELi64ELi16EdPKdPdEviiT2_lT3_lllS4_lllS3_lT4_llli.has_indirect_call, 0
	.section	.AMDGPU.csdata,"",@progbits
; Kernel info:
; codeLenInByte = 1456
; TotalNumSgprs: 42
; NumVgprs: 21
; ScratchSize: 0
; MemoryBound: 1
; FloatMode: 240
; IeeeMode: 1
; LDSByteSize: 8192 bytes/workgroup (compile time only)
; SGPRBlocks: 8
; VGPRBlocks: 7
; NumSGPRsForWavesPerEU: 65
; NumVGPRsForWavesPerEU: 29
; Occupancy: 8
; WaveLimiterHint : 1
; COMPUTE_PGM_RSRC2:SCRATCH_EN: 0
; COMPUTE_PGM_RSRC2:USER_SGPR: 6
; COMPUTE_PGM_RSRC2:TRAP_HANDLER: 0
; COMPUTE_PGM_RSRC2:TGID_X_EN: 1
; COMPUTE_PGM_RSRC2:TGID_Y_EN: 0
; COMPUTE_PGM_RSRC2:TGID_Z_EN: 1
; COMPUTE_PGM_RSRC2:TIDIG_COMP_CNT: 1
	.section	.text._ZL19rocblas_sbmv_kernelILb1ELi64ELi16EPKfPKS1_PKPfEviiT2_lT3_lllS8_lllS7_lT4_llli,"axG",@progbits,_ZL19rocblas_sbmv_kernelILb1ELi64ELi16EPKfPKS1_PKPfEviiT2_lT3_lllS8_lllS7_lT4_llli,comdat
	.globl	_ZL19rocblas_sbmv_kernelILb1ELi64ELi16EPKfPKS1_PKPfEviiT2_lT3_lllS8_lllS7_lT4_llli ; -- Begin function _ZL19rocblas_sbmv_kernelILb1ELi64ELi16EPKfPKS1_PKPfEviiT2_lT3_lllS8_lllS7_lT4_llli
	.p2align	8
	.type	_ZL19rocblas_sbmv_kernelILb1ELi64ELi16EPKfPKS1_PKPfEviiT2_lT3_lllS8_lllS7_lT4_llli,@function
_ZL19rocblas_sbmv_kernelILb1ELi64ELi16EPKfPKS1_PKPfEviiT2_lT3_lllS8_lllS7_lT4_llli: ; @_ZL19rocblas_sbmv_kernelILb1ELi64ELi16EPKfPKS1_PKPfEviiT2_lT3_lllS8_lllS7_lT4_llli
; %bb.0:
	s_load_dwordx2 s[0:1], s[4:5], 0x9c
	s_mov_b32 s26, s7
	s_waitcnt lgkmcnt(0)
	s_lshr_b32 s2, s0, 16
	s_and_b32 s7, s0, 0xffff
	s_and_b32 s1, s1, 0xffff
	s_mul_i32 s0, s2, s7
	s_mul_i32 s0, s0, s1
	s_cmpk_lg_i32 s0, 0x400
	s_cbranch_scc1 .LBB8_34
; %bb.1:
	s_load_dwordx8 s[16:23], s[4:5], 0x8
	s_load_dwordx8 s[8:15], s[4:5], 0x58
	s_waitcnt lgkmcnt(0)
	s_mul_i32 s1, s19, s26
	s_mul_hi_u32 s2, s18, s26
	s_mul_i32 s0, s18, s26
	s_add_i32 s1, s2, s1
	s_lshl_b64 s[0:1], s[0:1], 2
	s_add_u32 s0, s16, s0
	s_addc_u32 s1, s17, s1
	s_mul_i32 s3, s11, s26
	s_load_dword s34, s[0:1], 0x0
	s_mul_hi_u32 s0, s10, s26
	s_add_i32 s1, s0, s3
	s_mul_i32 s0, s10, s26
	s_lshl_b64 s[0:1], s[0:1], 2
	s_add_u32 s0, s8, s0
	s_addc_u32 s1, s9, s1
	s_load_dword s33, s[0:1], 0x0
	s_waitcnt lgkmcnt(0)
	v_cmp_eq_f32_e64 s[28:29], s34, 0
	v_cmp_eq_f32_e64 s[0:1], s33, 1.0
	s_and_b64 s[0:1], s[28:29], s[0:1]
	s_and_b64 vcc, exec, s[0:1]
	s_cbranch_vccnz .LBB8_34
; %bb.2:
	s_load_dwordx2 s[18:19], s[4:5], 0x28
	s_load_dwordx2 s[8:9], s[4:5], 0x78
	s_mov_b32 s27, 0
	v_cmp_neq_f32_e64 s[30:31], s34, 0
	s_mov_b64 s[10:11], 0
	s_and_b64 vcc, exec, s[28:29]
	s_mov_b64 s[24:25], 0
	s_cbranch_vccnz .LBB8_4
; %bb.3:
	s_lshl_b64 s[0:1], s[26:27], 3
	s_add_u32 s0, s20, s0
	s_addc_u32 s1, s21, s1
	s_load_dwordx2 s[0:1], s[0:1], 0x0
	s_lshl_b64 s[2:3], s[22:23], 2
	s_waitcnt lgkmcnt(0)
	s_add_u32 s24, s0, s2
	s_addc_u32 s25, s1, s3
.LBB8_4:
	s_load_dwordx4 s[0:3], s[4:5], 0x38
	s_load_dwordx2 s[16:17], s[4:5], 0x48
	s_andn2_b64 vcc, exec, s[30:31]
	s_cbranch_vccnz .LBB8_6
; %bb.5:
	s_lshl_b64 s[10:11], s[26:27], 3
	s_waitcnt lgkmcnt(0)
	s_add_u32 s0, s0, s10
	s_addc_u32 s1, s1, s11
	s_load_dwordx2 s[0:1], s[0:1], 0x0
	s_lshl_b64 s[2:3], s[2:3], 2
	s_waitcnt lgkmcnt(0)
	s_add_u32 s10, s0, s2
	s_addc_u32 s11, s1, s3
.LBB8_6:
	s_waitcnt lgkmcnt(0)
	s_lshl_b64 s[0:1], s[26:27], 3
	s_add_u32 s0, s12, s0
	s_addc_u32 s1, s13, s1
	s_load_dwordx2 s[2:3], s[0:1], 0x0
	s_load_dwordx2 s[12:13], s[4:5], 0x0
	s_lshl_b64 s[0:1], s[14:15], 2
	v_mad_u32_u24 v12, v1, s7, v0
	s_waitcnt lgkmcnt(0)
	s_add_u32 s30, s2, s0
	s_addc_u32 s31, s3, s1
	s_andn2_b64 vcc, exec, s[28:29]
	v_cmp_gt_u32_e64 s[0:1], 64, v12
	s_cbranch_vccnz .LBB8_11
; %bb.7:
	v_lshl_add_u32 v3, s6, 6, v12
	v_cmp_gt_i32_e32 vcc, s12, v3
	s_and_b64 s[14:15], s[0:1], vcc
	s_mov_b64 s[0:1], 0
	s_mov_b64 s[2:3], 0
                                        ; implicit-def: $vgpr2
                                        ; implicit-def: $vgpr0_vgpr1
	s_and_saveexec_b64 s[4:5], s[14:15]
	s_cbranch_execz .LBB8_12
; %bb.8:
	v_ashrrev_i32_e32 v0, 31, v3
	v_mul_lo_u32 v4, s9, v3
	v_mul_lo_u32 v5, s8, v0
	v_mad_u64_u32 v[0:1], s[2:3], s8, v3, 0
	v_cmp_eq_f32_e64 s[2:3], s33, 0
	v_mov_b32_e32 v2, 0
	v_add3_u32 v1, v1, v5, v4
	s_and_b64 vcc, exec, s[2:3]
	s_cbranch_vccnz .LBB8_10
; %bb.9:
	v_lshlrev_b64 v[2:3], 2, v[0:1]
	v_mov_b32_e32 v4, s31
	v_add_co_u32_e32 v2, vcc, s30, v2
	v_addc_co_u32_e32 v3, vcc, v4, v3, vcc
	flat_load_dword v2, v[2:3]
	s_waitcnt vmcnt(0) lgkmcnt(0)
	v_mul_f32_e32 v2, s33, v2
.LBB8_10:
	s_mov_b64 s[2:3], exec
	s_or_b64 exec, exec, s[4:5]
	s_and_b64 vcc, exec, s[0:1]
	s_cbranch_vccnz .LBB8_13
	s_branch .LBB8_32
.LBB8_11:
	s_mov_b64 s[2:3], 0
                                        ; implicit-def: $vgpr2
                                        ; implicit-def: $vgpr0_vgpr1
	s_cbranch_execnz .LBB8_13
	s_branch .LBB8_32
.LBB8_12:
	s_or_b64 exec, exec, s[4:5]
	s_and_b64 vcc, exec, s[0:1]
	s_cbranch_vccz .LBB8_32
.LBB8_13:
	v_lshrrev_b32_e32 v0, 6, v12
	s_lshl_b32 s28, s6, 6
	v_cmp_gt_i32_e32 vcc, s12, v0
	v_mov_b32_e32 v16, 0
	s_and_saveexec_b64 s[4:5], vcc
	s_cbranch_execz .LBB8_27
; %bb.14:
	v_and_b32_e32 v7, 63, v12
	v_or_b32_e32 v13, s28, v7
	v_mul_lo_u32 v3, s19, v13
	v_mad_u64_u32 v[1:2], s[0:1], s18, v13, 0
	v_mad_u64_u32 v[4:5], s[0:1], s18, v0, 0
	s_ashr_i32 s6, s28, 31
	s_mul_i32 s6, s18, s6
	v_add3_u32 v2, v2, s6, v3
	v_mov_b32_e32 v3, v5
	v_mad_u64_u32 v[5:6], s[0:1], s19, v0, v[3:4]
	v_lshlrev_b64 v[1:2], 2, v[1:2]
	v_mov_b32_e32 v8, s25
	v_add_co_u32_e64 v14, s[0:1], s24, v1
	v_lshlrev_b64 v[4:5], 2, v[4:5]
	v_addc_co_u32_e64 v15, s[0:1], v8, v2, s[0:1]
	v_add_co_u32_e64 v17, s[0:1], s24, v4
	v_mov_b32_e32 v3, 0
	v_addc_co_u32_e64 v18, s[0:1], v8, v5, s[0:1]
	v_mov_b32_e32 v1, v3
	s_add_i32 s0, s13, s28
	v_sub_u32_e32 v4, s13, v7
	s_lshl_b64 s[6:7], s[18:19], 6
	v_add_u32_e32 v2, s0, v7
	v_subrev_u32_e32 v19, s28, v4
	v_mov_b32_e32 v5, v1
	v_cmp_gt_i32_e32 vcc, s12, v13
	v_sub_u32_e32 v2, v2, v0
	s_mov_b64 s[14:15], 0
	v_mov_b32_e32 v20, s7
	v_mov_b32_e32 v4, v0
	;; [unrolled: 1-line block ×3, first 2 shown]
	s_branch .LBB8_17
.LBB8_15:                               ;   in Loop: Header=BB8_17 Depth=1
	s_or_b64 exec, exec, s[22:23]
.LBB8_16:                               ;   in Loop: Header=BB8_17 Depth=1
	s_or_b64 exec, exec, s[18:19]
	v_add_co_u32_e64 v4, s[0:1], 16, v4
	v_addc_co_u32_e64 v5, s[0:1], 0, v5, s[0:1]
	v_add_co_u32_e64 v17, s[0:1], s6, v17
	v_addc_co_u32_e64 v18, s[0:1], v18, v20, s[0:1]
	v_cmp_le_i32_e64 s[0:1], s12, v4
	v_add_u32_e32 v0, 16, v0
	s_or_b64 s[14:15], s[0:1], s[14:15]
	v_add_u32_e32 v2, -16, v2
	s_andn2_b64 exec, exec, s[14:15]
	s_cbranch_execz .LBB8_26
.LBB8_17:                               ; =>This Inner Loop Header: Depth=1
	s_and_saveexec_b64 s[18:19], vcc
	s_cbranch_execz .LBB8_16
; %bb.18:                               ;   in Loop: Header=BB8_17 Depth=1
	v_cmp_le_i32_e64 s[0:1], v13, v4
	s_mov_b64 s[20:21], 0
                                        ; implicit-def: $vgpr6_vgpr7
	s_and_saveexec_b64 s[22:23], s[0:1]
	s_xor_b64 s[22:23], exec, s[22:23]
; %bb.19:                               ;   in Loop: Header=BB8_17 Depth=1
	v_lshlrev_b64 v[6:7], 2, v[2:3]
	v_add_co_u32_e64 v6, s[0:1], v17, v6
	v_addc_co_u32_e64 v7, s[0:1], v18, v7, s[0:1]
	v_cmp_lt_i32_e64 s[0:1], -1, v2
	s_and_b64 s[20:21], s[0:1], exec
; %bb.20:                               ;   in Loop: Header=BB8_17 Depth=1
	s_or_saveexec_b64 s[22:23], s[22:23]
	v_mov_b32_e32 v9, v5
	v_mov_b32_e32 v8, v4
	s_xor_b64 exec, exec, s[22:23]
	s_cbranch_execz .LBB8_24
; %bb.21:                               ;   in Loop: Header=BB8_17 Depth=1
	v_add_u32_e32 v10, v19, v4
	v_cmp_lt_i32_e64 s[0:1], -1, v10
	s_mov_b64 s[26:27], s[20:21]
                                        ; implicit-def: $vgpr6_vgpr7
                                        ; implicit-def: $vgpr8_vgpr9
	s_and_saveexec_b64 s[24:25], s[0:1]
; %bb.22:                               ;   in Loop: Header=BB8_17 Depth=1
	v_mov_b32_e32 v11, v3
	v_lshlrev_b64 v[6:7], 2, v[10:11]
	v_mov_b32_e32 v1, v3
	v_add_co_u32_e64 v6, s[0:1], v14, v6
	v_mov_b32_e32 v9, v1
	v_addc_co_u32_e64 v7, s[0:1], v15, v7, s[0:1]
	s_or_b64 s[26:27], s[20:21], exec
	v_mov_b32_e32 v8, v0
; %bb.23:                               ;   in Loop: Header=BB8_17 Depth=1
	s_or_b64 exec, exec, s[24:25]
	s_andn2_b64 s[0:1], s[20:21], exec
	s_and_b64 s[20:21], s[26:27], exec
	s_or_b64 s[20:21], s[0:1], s[20:21]
.LBB8_24:                               ;   in Loop: Header=BB8_17 Depth=1
	s_or_b64 exec, exec, s[22:23]
	s_and_saveexec_b64 s[22:23], s[20:21]
	s_cbranch_execz .LBB8_15
; %bb.25:                               ;   in Loop: Header=BB8_17 Depth=1
	v_mul_lo_u32 v1, v9, s16
	v_mul_lo_u32 v10, v8, s17
	v_mad_u64_u32 v[8:9], s[0:1], v8, s16, 0
	flat_load_dword v11, v[6:7]
	v_add3_u32 v9, v9, v10, v1
	v_lshlrev_b64 v[6:7], 2, v[8:9]
	v_mov_b32_e32 v1, s11
	v_add_co_u32_e64 v6, s[0:1], s10, v6
	v_addc_co_u32_e64 v7, s[0:1], v1, v7, s[0:1]
	flat_load_dword v1, v[6:7]
	s_waitcnt vmcnt(0) lgkmcnt(0)
	v_fmac_f32_e32 v16, v11, v1
	s_branch .LBB8_15
.LBB8_26:
	s_or_b64 exec, exec, s[14:15]
.LBB8_27:
	s_or_b64 exec, exec, s[4:5]
	v_add_u32_e32 v4, s28, v12
	v_cmp_gt_u32_e32 vcc, 64, v12
	v_cmp_gt_i32_e64 s[0:1], s12, v4
	v_lshlrev_b32_e32 v3, 2, v12
	s_and_b64 s[4:5], vcc, s[0:1]
	ds_write_b32 v3, v16
	s_waitcnt lgkmcnt(0)
	s_barrier
                                        ; implicit-def: $vgpr2
                                        ; implicit-def: $vgpr0_vgpr1
	s_and_saveexec_b64 s[0:1], s[4:5]
	s_cbranch_execz .LBB8_31
; %bb.28:
	ds_read2st64_b32 v[0:1], v3 offset1:1
	ds_read2st64_b32 v[5:6], v3 offset0:2 offset1:3
	ds_read2st64_b32 v[7:8], v3 offset0:4 offset1:5
	;; [unrolled: 1-line block ×4, first 2 shown]
	s_waitcnt lgkmcnt(4)
	v_add_f32_e32 v0, v0, v1
	s_waitcnt lgkmcnt(3)
	v_add_f32_e32 v0, v5, v0
	v_add_f32_e32 v0, v6, v0
	s_waitcnt lgkmcnt(2)
	v_add_f32_e32 v0, v7, v0
	;; [unrolled: 3-line block ×3, first 2 shown]
	v_add_f32_e32 v2, v10, v0
	ds_read2st64_b32 v[0:1], v3 offset0:10 offset1:11
	ds_read2st64_b32 v[5:6], v3 offset0:12 offset1:13
	;; [unrolled: 1-line block ×3, first 2 shown]
	s_waitcnt lgkmcnt(3)
	v_add_f32_e32 v2, v11, v2
	v_add_f32_e32 v2, v12, v2
	s_waitcnt lgkmcnt(2)
	v_add_f32_e32 v0, v0, v2
	v_add_f32_e32 v0, v1, v0
	;; [unrolled: 3-line block ×4, first 2 shown]
	v_ashrrev_i32_e32 v0, 31, v4
	v_mul_lo_u32 v5, s9, v4
	v_mul_lo_u32 v6, s8, v0
	v_mad_u64_u32 v[0:1], s[4:5], s8, v4, 0
	v_cmp_eq_f32_e64 s[4:5], s33, 0
	ds_write_b32 v3, v2
	v_mul_f32_e32 v2, s34, v2
	v_add3_u32 v1, v1, v6, v5
	s_and_b64 vcc, exec, s[4:5]
	s_cbranch_vccnz .LBB8_30
; %bb.29:
	v_lshlrev_b64 v[3:4], 2, v[0:1]
	v_mov_b32_e32 v5, s31
	v_add_co_u32_e32 v3, vcc, s30, v3
	v_addc_co_u32_e32 v4, vcc, v5, v4, vcc
	flat_load_dword v3, v[3:4]
	s_waitcnt vmcnt(0) lgkmcnt(0)
	v_fmac_f32_e32 v2, s33, v3
.LBB8_30:
	s_or_b64 s[2:3], s[2:3], exec
.LBB8_31:
	s_or_b64 exec, exec, s[0:1]
.LBB8_32:
	s_and_saveexec_b64 s[0:1], s[2:3]
	s_cbranch_execz .LBB8_34
; %bb.33:
	v_lshlrev_b64 v[0:1], 2, v[0:1]
	v_mov_b32_e32 v3, s31
	v_add_co_u32_e32 v0, vcc, s30, v0
	v_addc_co_u32_e32 v1, vcc, v3, v1, vcc
	flat_store_dword v[0:1], v2
.LBB8_34:
	s_endpgm
	.section	.rodata,"a",@progbits
	.p2align	6, 0x0
	.amdhsa_kernel _ZL19rocblas_sbmv_kernelILb1ELi64ELi16EPKfPKS1_PKPfEviiT2_lT3_lllS8_lllS7_lT4_llli
		.amdhsa_group_segment_fixed_size 4096
		.amdhsa_private_segment_fixed_size 0
		.amdhsa_kernarg_size 400
		.amdhsa_user_sgpr_count 6
		.amdhsa_user_sgpr_private_segment_buffer 1
		.amdhsa_user_sgpr_dispatch_ptr 0
		.amdhsa_user_sgpr_queue_ptr 0
		.amdhsa_user_sgpr_kernarg_segment_ptr 1
		.amdhsa_user_sgpr_dispatch_id 0
		.amdhsa_user_sgpr_flat_scratch_init 0
		.amdhsa_user_sgpr_private_segment_size 0
		.amdhsa_uses_dynamic_stack 0
		.amdhsa_system_sgpr_private_segment_wavefront_offset 0
		.amdhsa_system_sgpr_workgroup_id_x 1
		.amdhsa_system_sgpr_workgroup_id_y 0
		.amdhsa_system_sgpr_workgroup_id_z 1
		.amdhsa_system_sgpr_workgroup_info 0
		.amdhsa_system_vgpr_workitem_id 1
		.amdhsa_next_free_vgpr 29
		.amdhsa_next_free_sgpr 61
		.amdhsa_reserve_vcc 1
		.amdhsa_reserve_flat_scratch 0
		.amdhsa_float_round_mode_32 0
		.amdhsa_float_round_mode_16_64 0
		.amdhsa_float_denorm_mode_32 3
		.amdhsa_float_denorm_mode_16_64 3
		.amdhsa_dx10_clamp 1
		.amdhsa_ieee_mode 1
		.amdhsa_fp16_overflow 0
		.amdhsa_exception_fp_ieee_invalid_op 0
		.amdhsa_exception_fp_denorm_src 0
		.amdhsa_exception_fp_ieee_div_zero 0
		.amdhsa_exception_fp_ieee_overflow 0
		.amdhsa_exception_fp_ieee_underflow 0
		.amdhsa_exception_fp_ieee_inexact 0
		.amdhsa_exception_int_div_zero 0
	.end_amdhsa_kernel
	.section	.text._ZL19rocblas_sbmv_kernelILb1ELi64ELi16EPKfPKS1_PKPfEviiT2_lT3_lllS8_lllS7_lT4_llli,"axG",@progbits,_ZL19rocblas_sbmv_kernelILb1ELi64ELi16EPKfPKS1_PKPfEviiT2_lT3_lllS8_lllS7_lT4_llli,comdat
.Lfunc_end8:
	.size	_ZL19rocblas_sbmv_kernelILb1ELi64ELi16EPKfPKS1_PKPfEviiT2_lT3_lllS8_lllS7_lT4_llli, .Lfunc_end8-_ZL19rocblas_sbmv_kernelILb1ELi64ELi16EPKfPKS1_PKPfEviiT2_lT3_lllS8_lllS7_lT4_llli
                                        ; -- End function
	.set _ZL19rocblas_sbmv_kernelILb1ELi64ELi16EPKfPKS1_PKPfEviiT2_lT3_lllS8_lllS7_lT4_llli.num_vgpr, 21
	.set _ZL19rocblas_sbmv_kernelILb1ELi64ELi16EPKfPKS1_PKPfEviiT2_lT3_lllS8_lllS7_lT4_llli.num_agpr, 0
	.set _ZL19rocblas_sbmv_kernelILb1ELi64ELi16EPKfPKS1_PKPfEviiT2_lT3_lllS8_lllS7_lT4_llli.numbered_sgpr, 35
	.set _ZL19rocblas_sbmv_kernelILb1ELi64ELi16EPKfPKS1_PKPfEviiT2_lT3_lllS8_lllS7_lT4_llli.num_named_barrier, 0
	.set _ZL19rocblas_sbmv_kernelILb1ELi64ELi16EPKfPKS1_PKPfEviiT2_lT3_lllS8_lllS7_lT4_llli.private_seg_size, 0
	.set _ZL19rocblas_sbmv_kernelILb1ELi64ELi16EPKfPKS1_PKPfEviiT2_lT3_lllS8_lllS7_lT4_llli.uses_vcc, 1
	.set _ZL19rocblas_sbmv_kernelILb1ELi64ELi16EPKfPKS1_PKPfEviiT2_lT3_lllS8_lllS7_lT4_llli.uses_flat_scratch, 0
	.set _ZL19rocblas_sbmv_kernelILb1ELi64ELi16EPKfPKS1_PKPfEviiT2_lT3_lllS8_lllS7_lT4_llli.has_dyn_sized_stack, 0
	.set _ZL19rocblas_sbmv_kernelILb1ELi64ELi16EPKfPKS1_PKPfEviiT2_lT3_lllS8_lllS7_lT4_llli.has_recursion, 0
	.set _ZL19rocblas_sbmv_kernelILb1ELi64ELi16EPKfPKS1_PKPfEviiT2_lT3_lllS8_lllS7_lT4_llli.has_indirect_call, 0
	.section	.AMDGPU.csdata,"",@progbits
; Kernel info:
; codeLenInByte = 1448
; TotalNumSgprs: 39
; NumVgprs: 21
; ScratchSize: 0
; MemoryBound: 0
; FloatMode: 240
; IeeeMode: 1
; LDSByteSize: 4096 bytes/workgroup (compile time only)
; SGPRBlocks: 8
; VGPRBlocks: 7
; NumSGPRsForWavesPerEU: 65
; NumVGPRsForWavesPerEU: 29
; Occupancy: 8
; WaveLimiterHint : 1
; COMPUTE_PGM_RSRC2:SCRATCH_EN: 0
; COMPUTE_PGM_RSRC2:USER_SGPR: 6
; COMPUTE_PGM_RSRC2:TRAP_HANDLER: 0
; COMPUTE_PGM_RSRC2:TGID_X_EN: 1
; COMPUTE_PGM_RSRC2:TGID_Y_EN: 0
; COMPUTE_PGM_RSRC2:TGID_Z_EN: 1
; COMPUTE_PGM_RSRC2:TIDIG_COMP_CNT: 1
	.section	.text._ZL19rocblas_sbmv_kernelILb0ELi64ELi16EPKfPKS1_PKPfEviiT2_lT3_lllS8_lllS7_lT4_llli,"axG",@progbits,_ZL19rocblas_sbmv_kernelILb0ELi64ELi16EPKfPKS1_PKPfEviiT2_lT3_lllS8_lllS7_lT4_llli,comdat
	.globl	_ZL19rocblas_sbmv_kernelILb0ELi64ELi16EPKfPKS1_PKPfEviiT2_lT3_lllS8_lllS7_lT4_llli ; -- Begin function _ZL19rocblas_sbmv_kernelILb0ELi64ELi16EPKfPKS1_PKPfEviiT2_lT3_lllS8_lllS7_lT4_llli
	.p2align	8
	.type	_ZL19rocblas_sbmv_kernelILb0ELi64ELi16EPKfPKS1_PKPfEviiT2_lT3_lllS8_lllS7_lT4_llli,@function
_ZL19rocblas_sbmv_kernelILb0ELi64ELi16EPKfPKS1_PKPfEviiT2_lT3_lllS8_lllS7_lT4_llli: ; @_ZL19rocblas_sbmv_kernelILb0ELi64ELi16EPKfPKS1_PKPfEviiT2_lT3_lllS8_lllS7_lT4_llli
; %bb.0:
	s_load_dwordx2 s[0:1], s[4:5], 0x9c
	s_mov_b32 s26, s7
	s_waitcnt lgkmcnt(0)
	s_lshr_b32 s2, s0, 16
	s_and_b32 s7, s0, 0xffff
	s_and_b32 s1, s1, 0xffff
	s_mul_i32 s0, s2, s7
	s_mul_i32 s0, s0, s1
	s_cmpk_lg_i32 s0, 0x400
	s_cbranch_scc1 .LBB9_34
; %bb.1:
	s_load_dwordx8 s[16:23], s[4:5], 0x8
	s_load_dwordx8 s[8:15], s[4:5], 0x58
	s_waitcnt lgkmcnt(0)
	s_mul_i32 s1, s19, s26
	s_mul_hi_u32 s2, s18, s26
	s_mul_i32 s0, s18, s26
	s_add_i32 s1, s2, s1
	s_lshl_b64 s[0:1], s[0:1], 2
	s_add_u32 s0, s16, s0
	s_addc_u32 s1, s17, s1
	s_mul_i32 s3, s11, s26
	s_load_dword s34, s[0:1], 0x0
	s_mul_hi_u32 s0, s10, s26
	s_add_i32 s1, s0, s3
	s_mul_i32 s0, s10, s26
	s_lshl_b64 s[0:1], s[0:1], 2
	s_add_u32 s0, s8, s0
	s_addc_u32 s1, s9, s1
	s_load_dword s33, s[0:1], 0x0
	s_waitcnt lgkmcnt(0)
	v_cmp_eq_f32_e64 s[28:29], s34, 0
	v_cmp_eq_f32_e64 s[0:1], s33, 1.0
	s_and_b64 s[0:1], s[28:29], s[0:1]
	s_and_b64 vcc, exec, s[0:1]
	s_cbranch_vccnz .LBB9_34
; %bb.2:
	s_load_dwordx2 s[18:19], s[4:5], 0x28
	s_load_dwordx2 s[8:9], s[4:5], 0x78
	s_mov_b32 s27, 0
	v_cmp_neq_f32_e64 s[30:31], s34, 0
	s_mov_b64 s[10:11], 0
	s_and_b64 vcc, exec, s[28:29]
	s_mov_b64 s[24:25], 0
	s_cbranch_vccnz .LBB9_4
; %bb.3:
	s_lshl_b64 s[0:1], s[26:27], 3
	s_add_u32 s0, s20, s0
	s_addc_u32 s1, s21, s1
	s_load_dwordx2 s[0:1], s[0:1], 0x0
	s_lshl_b64 s[2:3], s[22:23], 2
	s_waitcnt lgkmcnt(0)
	s_add_u32 s24, s0, s2
	s_addc_u32 s25, s1, s3
.LBB9_4:
	s_load_dwordx4 s[0:3], s[4:5], 0x38
	s_load_dwordx2 s[16:17], s[4:5], 0x48
	s_andn2_b64 vcc, exec, s[30:31]
	s_cbranch_vccnz .LBB9_6
; %bb.5:
	s_lshl_b64 s[10:11], s[26:27], 3
	s_waitcnt lgkmcnt(0)
	s_add_u32 s0, s0, s10
	s_addc_u32 s1, s1, s11
	s_load_dwordx2 s[0:1], s[0:1], 0x0
	s_lshl_b64 s[2:3], s[2:3], 2
	s_waitcnt lgkmcnt(0)
	s_add_u32 s10, s0, s2
	s_addc_u32 s11, s1, s3
.LBB9_6:
	s_waitcnt lgkmcnt(0)
	s_lshl_b64 s[0:1], s[26:27], 3
	s_add_u32 s0, s12, s0
	s_addc_u32 s1, s13, s1
	s_load_dwordx2 s[2:3], s[0:1], 0x0
	s_load_dwordx2 s[12:13], s[4:5], 0x0
	s_lshl_b64 s[0:1], s[14:15], 2
	v_mad_u32_u24 v10, v1, s7, v0
	s_waitcnt lgkmcnt(0)
	s_add_u32 s26, s2, s0
	s_addc_u32 s27, s3, s1
	s_andn2_b64 vcc, exec, s[28:29]
	v_cmp_gt_u32_e64 s[0:1], 64, v10
	s_cbranch_vccnz .LBB9_11
; %bb.7:
	v_lshl_add_u32 v3, s6, 6, v10
	v_cmp_gt_i32_e32 vcc, s12, v3
	s_and_b64 s[14:15], s[0:1], vcc
	s_mov_b64 s[0:1], 0
	s_mov_b64 s[2:3], 0
                                        ; implicit-def: $vgpr2
                                        ; implicit-def: $vgpr0_vgpr1
	s_and_saveexec_b64 s[4:5], s[14:15]
	s_cbranch_execz .LBB9_12
; %bb.8:
	v_ashrrev_i32_e32 v0, 31, v3
	v_mul_lo_u32 v4, s9, v3
	v_mul_lo_u32 v5, s8, v0
	v_mad_u64_u32 v[0:1], s[2:3], s8, v3, 0
	v_cmp_eq_f32_e64 s[2:3], s33, 0
	v_mov_b32_e32 v2, 0
	v_add3_u32 v1, v1, v5, v4
	s_and_b64 vcc, exec, s[2:3]
	s_cbranch_vccnz .LBB9_10
; %bb.9:
	v_lshlrev_b64 v[2:3], 2, v[0:1]
	v_mov_b32_e32 v4, s27
	v_add_co_u32_e32 v2, vcc, s26, v2
	v_addc_co_u32_e32 v3, vcc, v4, v3, vcc
	flat_load_dword v2, v[2:3]
	s_waitcnt vmcnt(0) lgkmcnt(0)
	v_mul_f32_e32 v2, s33, v2
.LBB9_10:
	s_mov_b64 s[2:3], exec
	s_or_b64 exec, exec, s[4:5]
	s_and_b64 vcc, exec, s[0:1]
	s_cbranch_vccnz .LBB9_13
	s_branch .LBB9_32
.LBB9_11:
	s_mov_b64 s[2:3], 0
                                        ; implicit-def: $vgpr2
                                        ; implicit-def: $vgpr0_vgpr1
	s_cbranch_execnz .LBB9_13
	s_branch .LBB9_32
.LBB9_12:
	s_or_b64 exec, exec, s[4:5]
	s_and_b64 vcc, exec, s[0:1]
	s_cbranch_vccz .LBB9_32
.LBB9_13:
	v_lshrrev_b32_e32 v0, 6, v10
	s_lshl_b32 s28, s6, 6
	v_cmp_gt_i32_e32 vcc, s12, v0
	v_mov_b32_e32 v14, 0
	s_and_saveexec_b64 s[4:5], vcc
	s_cbranch_execz .LBB9_27
; %bb.14:
	v_and_b32_e32 v3, 63, v10
	v_or_b32_e32 v11, s28, v3
	v_mul_lo_u32 v4, s19, v11
	v_mad_u64_u32 v[1:2], s[0:1], s18, v11, 0
	s_ashr_i32 s0, s28, 31
	s_mul_i32 s0, s18, s0
	v_add3_u32 v2, v2, s0, v4
	v_add_u32_e32 v4, s28, v3
	v_ashrrev_i32_e32 v5, 31, v4
	s_lshl_b64 s[6:7], s[18:19], 2
	v_lshlrev_b64 v[5:6], 2, v[4:5]
	s_add_u32 s0, s6, -4
	v_lshlrev_b64 v[1:2], 2, v[1:2]
	v_mad_u64_u32 v[5:6], s[0:1], v0, s0, v[5:6]
	v_mov_b32_e32 v8, s25
	v_add_co_u32_e64 v12, s[0:1], s24, v1
	v_addc_co_u32_e64 v13, s[0:1], v8, v2, s[0:1]
	s_addc_u32 s0, s7, -1
	v_mov_b32_e32 v2, v6
	v_mad_u64_u32 v[6:7], s[0:1], v0, s0, v[2:3]
	v_add_co_u32_e64 v2, s[0:1], s24, v5
	v_addc_co_u32_e64 v3, s[0:1], v8, v6, s[0:1]
	s_lshl_b64 s[0:1], s[18:19], 6
	v_mov_b32_e32 v1, 0
	s_add_u32 s29, s0, 0xffffffc0
	s_addc_u32 s0, s1, -1
	v_sub_u32_e32 v15, 0, v4
	v_sub_u32_e32 v16, v4, v0
	v_mov_b32_e32 v5, v1
	v_cmp_gt_i32_e32 vcc, s12, v11
	s_mov_b64 s[6:7], 0
	v_mov_b32_e32 v17, s0
	v_mov_b32_e32 v4, v0
	;; [unrolled: 1-line block ×3, first 2 shown]
	s_branch .LBB9_17
.LBB9_15:                               ;   in Loop: Header=BB9_17 Depth=1
	s_or_b64 exec, exec, s[20:21]
.LBB9_16:                               ;   in Loop: Header=BB9_17 Depth=1
	s_or_b64 exec, exec, s[14:15]
	v_add_co_u32_e64 v4, s[0:1], 16, v4
	v_addc_co_u32_e64 v5, s[0:1], 0, v5, s[0:1]
	v_add_co_u32_e64 v2, s[0:1], s29, v2
	v_addc_co_u32_e64 v3, s[0:1], v3, v17, s[0:1]
	v_cmp_le_i32_e64 s[0:1], s12, v4
	v_add_u32_e32 v0, 16, v0
	s_or_b64 s[6:7], s[0:1], s[6:7]
	v_add_u32_e32 v16, -16, v16
	s_andn2_b64 exec, exec, s[6:7]
	s_cbranch_execz .LBB9_26
.LBB9_17:                               ; =>This Inner Loop Header: Depth=1
	s_and_saveexec_b64 s[14:15], vcc
	s_cbranch_execz .LBB9_16
; %bb.18:                               ;   in Loop: Header=BB9_17 Depth=1
	v_cmp_ge_i32_e64 s[0:1], v11, v4
	s_mov_b64 s[18:19], 0
	s_and_saveexec_b64 s[20:21], s[0:1]
	s_xor_b64 s[20:21], exec, s[20:21]
; %bb.19:                               ;   in Loop: Header=BB9_17 Depth=1
	v_cmp_ge_i32_e64 s[0:1], s13, v16
	s_and_b64 s[18:19], s[0:1], exec
; %bb.20:                               ;   in Loop: Header=BB9_17 Depth=1
	s_or_saveexec_b64 s[20:21], s[20:21]
	v_mov_b32_e32 v7, v3
	v_mov_b32_e32 v9, v5
	;; [unrolled: 1-line block ×4, first 2 shown]
	s_xor_b64 exec, exec, s[20:21]
	s_cbranch_execz .LBB9_24
; %bb.21:                               ;   in Loop: Header=BB9_17 Depth=1
	v_add_u32_e32 v6, v15, v4
	v_cmp_ge_i32_e64 s[0:1], s13, v6
	s_mov_b64 s[24:25], s[18:19]
                                        ; implicit-def: $vgpr6_vgpr7
                                        ; implicit-def: $vgpr8_vgpr9
	s_and_saveexec_b64 s[22:23], s[0:1]
; %bb.22:                               ;   in Loop: Header=BB9_17 Depth=1
	v_sub_u32_e32 v6, v0, v11
	v_ashrrev_i32_e32 v7, 31, v6
	v_lshlrev_b64 v[6:7], 2, v[6:7]
	v_mov_b32_e32 v9, v1
	v_add_co_u32_e64 v6, s[0:1], v12, v6
	v_addc_co_u32_e64 v7, s[0:1], v13, v7, s[0:1]
	s_or_b64 s[24:25], s[18:19], exec
	v_mov_b32_e32 v8, v0
; %bb.23:                               ;   in Loop: Header=BB9_17 Depth=1
	s_or_b64 exec, exec, s[22:23]
	s_andn2_b64 s[0:1], s[18:19], exec
	s_and_b64 s[18:19], s[24:25], exec
	s_or_b64 s[18:19], s[0:1], s[18:19]
.LBB9_24:                               ;   in Loop: Header=BB9_17 Depth=1
	s_or_b64 exec, exec, s[20:21]
	s_and_saveexec_b64 s[20:21], s[18:19]
	s_cbranch_execz .LBB9_15
; %bb.25:                               ;   in Loop: Header=BB9_17 Depth=1
	v_mul_lo_u32 v18, v9, s16
	v_mul_lo_u32 v19, v8, s17
	v_mad_u64_u32 v[8:9], s[0:1], v8, s16, 0
	flat_load_dword v20, v[6:7]
	v_add3_u32 v9, v9, v19, v18
	v_lshlrev_b64 v[6:7], 2, v[8:9]
	v_mov_b32_e32 v8, s11
	v_add_co_u32_e64 v6, s[0:1], s10, v6
	v_addc_co_u32_e64 v7, s[0:1], v8, v7, s[0:1]
	flat_load_dword v6, v[6:7]
	s_waitcnt vmcnt(0) lgkmcnt(0)
	v_fmac_f32_e32 v14, v20, v6
	s_branch .LBB9_15
.LBB9_26:
	s_or_b64 exec, exec, s[6:7]
.LBB9_27:
	s_or_b64 exec, exec, s[4:5]
	v_add_u32_e32 v4, s28, v10
	v_cmp_gt_u32_e32 vcc, 64, v10
	v_cmp_gt_i32_e64 s[0:1], s12, v4
	v_lshlrev_b32_e32 v3, 2, v10
	s_and_b64 s[4:5], vcc, s[0:1]
	ds_write_b32 v3, v14
	s_waitcnt lgkmcnt(0)
	s_barrier
                                        ; implicit-def: $vgpr2
                                        ; implicit-def: $vgpr0_vgpr1
	s_and_saveexec_b64 s[0:1], s[4:5]
	s_cbranch_execz .LBB9_31
; %bb.28:
	ds_read2st64_b32 v[0:1], v3 offset1:1
	ds_read2st64_b32 v[5:6], v3 offset0:2 offset1:3
	ds_read2st64_b32 v[7:8], v3 offset0:4 offset1:5
	;; [unrolled: 1-line block ×4, first 2 shown]
	s_waitcnt lgkmcnt(4)
	v_add_f32_e32 v0, v0, v1
	s_waitcnt lgkmcnt(3)
	v_add_f32_e32 v0, v5, v0
	v_add_f32_e32 v0, v6, v0
	s_waitcnt lgkmcnt(2)
	v_add_f32_e32 v0, v7, v0
	;; [unrolled: 3-line block ×3, first 2 shown]
	v_add_f32_e32 v2, v10, v0
	ds_read2st64_b32 v[0:1], v3 offset0:10 offset1:11
	ds_read2st64_b32 v[5:6], v3 offset0:12 offset1:13
	;; [unrolled: 1-line block ×3, first 2 shown]
	s_waitcnt lgkmcnt(3)
	v_add_f32_e32 v2, v11, v2
	v_add_f32_e32 v2, v12, v2
	s_waitcnt lgkmcnt(2)
	v_add_f32_e32 v0, v0, v2
	v_add_f32_e32 v0, v1, v0
	;; [unrolled: 3-line block ×4, first 2 shown]
	v_ashrrev_i32_e32 v0, 31, v4
	v_mul_lo_u32 v5, s9, v4
	v_mul_lo_u32 v6, s8, v0
	v_mad_u64_u32 v[0:1], s[4:5], s8, v4, 0
	v_cmp_eq_f32_e64 s[4:5], s33, 0
	ds_write_b32 v3, v2
	v_mul_f32_e32 v2, s34, v2
	v_add3_u32 v1, v1, v6, v5
	s_and_b64 vcc, exec, s[4:5]
	s_cbranch_vccnz .LBB9_30
; %bb.29:
	v_lshlrev_b64 v[3:4], 2, v[0:1]
	v_mov_b32_e32 v5, s27
	v_add_co_u32_e32 v3, vcc, s26, v3
	v_addc_co_u32_e32 v4, vcc, v5, v4, vcc
	flat_load_dword v3, v[3:4]
	s_waitcnt vmcnt(0) lgkmcnt(0)
	v_fmac_f32_e32 v2, s33, v3
.LBB9_30:
	s_or_b64 s[2:3], s[2:3], exec
.LBB9_31:
	s_or_b64 exec, exec, s[0:1]
.LBB9_32:
	s_and_saveexec_b64 s[0:1], s[2:3]
	s_cbranch_execz .LBB9_34
; %bb.33:
	v_lshlrev_b64 v[0:1], 2, v[0:1]
	v_mov_b32_e32 v3, s27
	v_add_co_u32_e32 v0, vcc, s26, v0
	v_addc_co_u32_e32 v1, vcc, v3, v1, vcc
	flat_store_dword v[0:1], v2
.LBB9_34:
	s_endpgm
	.section	.rodata,"a",@progbits
	.p2align	6, 0x0
	.amdhsa_kernel _ZL19rocblas_sbmv_kernelILb0ELi64ELi16EPKfPKS1_PKPfEviiT2_lT3_lllS8_lllS7_lT4_llli
		.amdhsa_group_segment_fixed_size 4096
		.amdhsa_private_segment_fixed_size 0
		.amdhsa_kernarg_size 400
		.amdhsa_user_sgpr_count 6
		.amdhsa_user_sgpr_private_segment_buffer 1
		.amdhsa_user_sgpr_dispatch_ptr 0
		.amdhsa_user_sgpr_queue_ptr 0
		.amdhsa_user_sgpr_kernarg_segment_ptr 1
		.amdhsa_user_sgpr_dispatch_id 0
		.amdhsa_user_sgpr_flat_scratch_init 0
		.amdhsa_user_sgpr_private_segment_size 0
		.amdhsa_uses_dynamic_stack 0
		.amdhsa_system_sgpr_private_segment_wavefront_offset 0
		.amdhsa_system_sgpr_workgroup_id_x 1
		.amdhsa_system_sgpr_workgroup_id_y 0
		.amdhsa_system_sgpr_workgroup_id_z 1
		.amdhsa_system_sgpr_workgroup_info 0
		.amdhsa_system_vgpr_workitem_id 1
		.amdhsa_next_free_vgpr 29
		.amdhsa_next_free_sgpr 61
		.amdhsa_reserve_vcc 1
		.amdhsa_reserve_flat_scratch 0
		.amdhsa_float_round_mode_32 0
		.amdhsa_float_round_mode_16_64 0
		.amdhsa_float_denorm_mode_32 3
		.amdhsa_float_denorm_mode_16_64 3
		.amdhsa_dx10_clamp 1
		.amdhsa_ieee_mode 1
		.amdhsa_fp16_overflow 0
		.amdhsa_exception_fp_ieee_invalid_op 0
		.amdhsa_exception_fp_denorm_src 0
		.amdhsa_exception_fp_ieee_div_zero 0
		.amdhsa_exception_fp_ieee_overflow 0
		.amdhsa_exception_fp_ieee_underflow 0
		.amdhsa_exception_fp_ieee_inexact 0
		.amdhsa_exception_int_div_zero 0
	.end_amdhsa_kernel
	.section	.text._ZL19rocblas_sbmv_kernelILb0ELi64ELi16EPKfPKS1_PKPfEviiT2_lT3_lllS8_lllS7_lT4_llli,"axG",@progbits,_ZL19rocblas_sbmv_kernelILb0ELi64ELi16EPKfPKS1_PKPfEviiT2_lT3_lllS8_lllS7_lT4_llli,comdat
.Lfunc_end9:
	.size	_ZL19rocblas_sbmv_kernelILb0ELi64ELi16EPKfPKS1_PKPfEviiT2_lT3_lllS8_lllS7_lT4_llli, .Lfunc_end9-_ZL19rocblas_sbmv_kernelILb0ELi64ELi16EPKfPKS1_PKPfEviiT2_lT3_lllS8_lllS7_lT4_llli
                                        ; -- End function
	.set _ZL19rocblas_sbmv_kernelILb0ELi64ELi16EPKfPKS1_PKPfEviiT2_lT3_lllS8_lllS7_lT4_llli.num_vgpr, 21
	.set _ZL19rocblas_sbmv_kernelILb0ELi64ELi16EPKfPKS1_PKPfEviiT2_lT3_lllS8_lllS7_lT4_llli.num_agpr, 0
	.set _ZL19rocblas_sbmv_kernelILb0ELi64ELi16EPKfPKS1_PKPfEviiT2_lT3_lllS8_lllS7_lT4_llli.numbered_sgpr, 35
	.set _ZL19rocblas_sbmv_kernelILb0ELi64ELi16EPKfPKS1_PKPfEviiT2_lT3_lllS8_lllS7_lT4_llli.num_named_barrier, 0
	.set _ZL19rocblas_sbmv_kernelILb0ELi64ELi16EPKfPKS1_PKPfEviiT2_lT3_lllS8_lllS7_lT4_llli.private_seg_size, 0
	.set _ZL19rocblas_sbmv_kernelILb0ELi64ELi16EPKfPKS1_PKPfEviiT2_lT3_lllS8_lllS7_lT4_llli.uses_vcc, 1
	.set _ZL19rocblas_sbmv_kernelILb0ELi64ELi16EPKfPKS1_PKPfEviiT2_lT3_lllS8_lllS7_lT4_llli.uses_flat_scratch, 0
	.set _ZL19rocblas_sbmv_kernelILb0ELi64ELi16EPKfPKS1_PKPfEviiT2_lT3_lllS8_lllS7_lT4_llli.has_dyn_sized_stack, 0
	.set _ZL19rocblas_sbmv_kernelILb0ELi64ELi16EPKfPKS1_PKPfEviiT2_lT3_lllS8_lllS7_lT4_llli.has_recursion, 0
	.set _ZL19rocblas_sbmv_kernelILb0ELi64ELi16EPKfPKS1_PKPfEviiT2_lT3_lllS8_lllS7_lT4_llli.has_indirect_call, 0
	.section	.AMDGPU.csdata,"",@progbits
; Kernel info:
; codeLenInByte = 1448
; TotalNumSgprs: 39
; NumVgprs: 21
; ScratchSize: 0
; MemoryBound: 0
; FloatMode: 240
; IeeeMode: 1
; LDSByteSize: 4096 bytes/workgroup (compile time only)
; SGPRBlocks: 8
; VGPRBlocks: 7
; NumSGPRsForWavesPerEU: 65
; NumVGPRsForWavesPerEU: 29
; Occupancy: 8
; WaveLimiterHint : 1
; COMPUTE_PGM_RSRC2:SCRATCH_EN: 0
; COMPUTE_PGM_RSRC2:USER_SGPR: 6
; COMPUTE_PGM_RSRC2:TRAP_HANDLER: 0
; COMPUTE_PGM_RSRC2:TGID_X_EN: 1
; COMPUTE_PGM_RSRC2:TGID_Y_EN: 0
; COMPUTE_PGM_RSRC2:TGID_Z_EN: 1
; COMPUTE_PGM_RSRC2:TIDIG_COMP_CNT: 1
	.section	.text._ZL19rocblas_sbmv_kernelILb1ELi64ELi16EfPKPKfPKPfEviiT2_lT3_lllS8_lllS7_lT4_llli,"axG",@progbits,_ZL19rocblas_sbmv_kernelILb1ELi64ELi16EfPKPKfPKPfEviiT2_lT3_lllS8_lllS7_lT4_llli,comdat
	.globl	_ZL19rocblas_sbmv_kernelILb1ELi64ELi16EfPKPKfPKPfEviiT2_lT3_lllS8_lllS7_lT4_llli ; -- Begin function _ZL19rocblas_sbmv_kernelILb1ELi64ELi16EfPKPKfPKPfEviiT2_lT3_lllS8_lllS7_lT4_llli
	.p2align	8
	.type	_ZL19rocblas_sbmv_kernelILb1ELi64ELi16EfPKPKfPKPfEviiT2_lT3_lllS8_lllS7_lT4_llli,@function
_ZL19rocblas_sbmv_kernelILb1ELi64ELi16EfPKPKfPKPfEviiT2_lT3_lllS8_lllS7_lT4_llli: ; @_ZL19rocblas_sbmv_kernelILb1ELi64ELi16EfPKPKfPKPfEviiT2_lT3_lllS8_lllS7_lT4_llli
; %bb.0:
	s_load_dwordx2 s[0:1], s[4:5], 0x9c
	s_mov_b32 s20, s7
	s_waitcnt lgkmcnt(0)
	s_lshr_b32 s2, s0, 16
	s_and_b32 s7, s0, 0xffff
	s_and_b32 s1, s1, 0xffff
	s_mul_i32 s0, s2, s7
	s_mul_i32 s0, s0, s1
	s_cmpk_lg_i32 s0, 0x400
	s_cbranch_scc1 .LBB10_36
; %bb.1:
	s_load_dwordx4 s[8:11], s[4:5], 0x0
	s_waitcnt lgkmcnt(0)
	s_load_dword s11, s[4:5], 0x58
	v_cmp_eq_f32_e64 s[22:23], s10, 0
	s_waitcnt lgkmcnt(0)
	v_cmp_eq_f32_e64 s[0:1], s11, 1.0
	s_and_b64 s[0:1], s[22:23], s[0:1]
	s_and_b64 vcc, exec, s[0:1]
	s_cbranch_vccnz .LBB10_36
; %bb.2:
	s_load_dwordx4 s[0:3], s[4:5], 0x18
	s_load_dwordx2 s[16:17], s[4:5], 0x28
	v_cmp_neq_f32_e64 s[24:25], s10, 0
	s_mov_b32 s21, 0
	s_and_b64 vcc, exec, s[24:25]
	s_cbranch_vccnz .LBB10_4
; %bb.3:
	s_mov_b64 s[12:13], 0
	s_mov_b64 s[18:19], 0
	s_cbranch_execz .LBB10_5
	s_branch .LBB10_6
.LBB10_4:
	s_mov_b64 s[12:13], 0
	s_mov_b64 s[18:19], 0
.LBB10_5:
	s_lshl_b64 s[14:15], s[20:21], 3
	s_waitcnt lgkmcnt(0)
	s_add_u32 s0, s0, s14
	s_addc_u32 s1, s1, s15
	s_load_dwordx2 s[0:1], s[0:1], 0x0
	s_lshl_b64 s[2:3], s[2:3], 2
	s_waitcnt lgkmcnt(0)
	s_add_u32 s18, s0, s2
	s_addc_u32 s19, s1, s3
.LBB10_6:
	s_waitcnt lgkmcnt(0)
	s_load_dwordx4 s[0:3], s[4:5], 0x38
	s_load_dwordx2 s[14:15], s[4:5], 0x48
	s_andn2_b64 vcc, exec, s[24:25]
	s_cbranch_vccnz .LBB10_8
; %bb.7:
	s_lshl_b64 s[12:13], s[20:21], 3
	s_waitcnt lgkmcnt(0)
	s_add_u32 s0, s0, s12
	s_addc_u32 s1, s1, s13
	s_load_dwordx2 s[0:1], s[0:1], 0x0
	s_lshl_b64 s[2:3], s[2:3], 2
	s_waitcnt lgkmcnt(0)
	s_add_u32 s12, s0, s2
	s_addc_u32 s13, s1, s3
.LBB10_8:
	s_load_dwordx4 s[24:27], s[4:5], 0x68
	s_waitcnt lgkmcnt(0)
	s_load_dwordx2 s[2:3], s[4:5], 0x78
	s_lshl_b64 s[0:1], s[20:21], 3
	v_mad_u32_u24 v12, v1, s7, v0
	s_add_u32 s0, s24, s0
	s_addc_u32 s1, s25, s1
	s_load_dwordx2 s[0:1], s[0:1], 0x0
	s_lshl_b64 s[4:5], s[26:27], 2
	s_waitcnt lgkmcnt(0)
	s_add_u32 s30, s0, s4
	s_addc_u32 s31, s1, s5
	s_andn2_b64 vcc, exec, s[22:23]
	v_cmp_gt_u32_e64 s[0:1], 64, v12
	s_cbranch_vccnz .LBB10_13
; %bb.9:
	v_lshl_add_u32 v3, s6, 6, v12
	v_cmp_gt_i32_e32 vcc, s8, v3
	s_and_b64 s[22:23], s[0:1], vcc
	s_mov_b64 s[0:1], 0
	s_mov_b64 s[4:5], 0
                                        ; implicit-def: $vgpr2
                                        ; implicit-def: $vgpr0_vgpr1
	s_and_saveexec_b64 s[20:21], s[22:23]
	s_cbranch_execz .LBB10_14
; %bb.10:
	v_ashrrev_i32_e32 v0, 31, v3
	v_mul_lo_u32 v4, s3, v3
	v_mul_lo_u32 v5, s2, v0
	v_mad_u64_u32 v[0:1], s[4:5], s2, v3, 0
	v_cmp_eq_f32_e64 s[4:5], s11, 0
	v_mov_b32_e32 v2, 0
	v_add3_u32 v1, v1, v5, v4
	s_and_b64 vcc, exec, s[4:5]
	s_cbranch_vccnz .LBB10_12
; %bb.11:
	v_lshlrev_b64 v[2:3], 2, v[0:1]
	v_mov_b32_e32 v4, s31
	v_add_co_u32_e32 v2, vcc, s30, v2
	v_addc_co_u32_e32 v3, vcc, v4, v3, vcc
	flat_load_dword v2, v[2:3]
	s_waitcnt vmcnt(0) lgkmcnt(0)
	v_mul_f32_e32 v2, s11, v2
.LBB10_12:
	s_mov_b64 s[4:5], exec
	s_or_b64 exec, exec, s[20:21]
	s_and_b64 vcc, exec, s[0:1]
	s_cbranch_vccnz .LBB10_15
	s_branch .LBB10_34
.LBB10_13:
	s_mov_b64 s[4:5], 0
                                        ; implicit-def: $vgpr2
                                        ; implicit-def: $vgpr0_vgpr1
	s_cbranch_execnz .LBB10_15
	s_branch .LBB10_34
.LBB10_14:
	s_or_b64 exec, exec, s[20:21]
	s_and_b64 vcc, exec, s[0:1]
	s_cbranch_vccz .LBB10_34
.LBB10_15:
	v_lshrrev_b32_e32 v0, 6, v12
	s_lshl_b32 s33, s6, 6
	v_cmp_gt_i32_e32 vcc, s8, v0
	v_mov_b32_e32 v16, 0
	s_and_saveexec_b64 s[6:7], vcc
	s_cbranch_execz .LBB10_29
; %bb.16:
	v_and_b32_e32 v7, 63, v12
	v_or_b32_e32 v13, s33, v7
	v_mul_lo_u32 v3, s17, v13
	v_mad_u64_u32 v[1:2], s[0:1], s16, v13, 0
	v_mad_u64_u32 v[4:5], s[0:1], s16, v0, 0
	s_ashr_i32 s20, s33, 31
	s_mul_i32 s20, s16, s20
	v_add3_u32 v2, v2, s20, v3
	v_mov_b32_e32 v3, v5
	v_mad_u64_u32 v[5:6], s[0:1], s17, v0, v[3:4]
	v_lshlrev_b64 v[1:2], 2, v[1:2]
	v_mov_b32_e32 v8, s19
	v_add_co_u32_e64 v14, s[0:1], s18, v1
	v_lshlrev_b64 v[4:5], 2, v[4:5]
	v_addc_co_u32_e64 v15, s[0:1], v8, v2, s[0:1]
	v_add_co_u32_e64 v17, s[0:1], s18, v4
	v_mov_b32_e32 v3, 0
	v_addc_co_u32_e64 v18, s[0:1], v8, v5, s[0:1]
	v_mov_b32_e32 v1, v3
	s_add_i32 s0, s9, s33
	v_sub_u32_e32 v4, s9, v7
	s_lshl_b64 s[16:17], s[16:17], 6
	v_add_u32_e32 v2, s0, v7
	v_subrev_u32_e32 v19, s33, v4
	v_mov_b32_e32 v5, v1
	v_cmp_gt_i32_e32 vcc, s8, v13
	v_sub_u32_e32 v2, v2, v0
	s_mov_b64 s[18:19], 0
	v_mov_b32_e32 v20, s17
	v_mov_b32_e32 v4, v0
	;; [unrolled: 1-line block ×3, first 2 shown]
	s_branch .LBB10_19
.LBB10_17:                              ;   in Loop: Header=BB10_19 Depth=1
	s_or_b64 exec, exec, s[24:25]
.LBB10_18:                              ;   in Loop: Header=BB10_19 Depth=1
	s_or_b64 exec, exec, s[20:21]
	v_add_co_u32_e64 v4, s[0:1], 16, v4
	v_addc_co_u32_e64 v5, s[0:1], 0, v5, s[0:1]
	v_add_co_u32_e64 v17, s[0:1], s16, v17
	v_addc_co_u32_e64 v18, s[0:1], v18, v20, s[0:1]
	v_cmp_le_i32_e64 s[0:1], s8, v4
	v_add_u32_e32 v0, 16, v0
	s_or_b64 s[18:19], s[0:1], s[18:19]
	v_add_u32_e32 v2, -16, v2
	s_andn2_b64 exec, exec, s[18:19]
	s_cbranch_execz .LBB10_28
.LBB10_19:                              ; =>This Inner Loop Header: Depth=1
	s_and_saveexec_b64 s[20:21], vcc
	s_cbranch_execz .LBB10_18
; %bb.20:                               ;   in Loop: Header=BB10_19 Depth=1
	v_cmp_le_i32_e64 s[0:1], v13, v4
	s_mov_b64 s[22:23], 0
                                        ; implicit-def: $vgpr6_vgpr7
	s_and_saveexec_b64 s[24:25], s[0:1]
	s_xor_b64 s[24:25], exec, s[24:25]
; %bb.21:                               ;   in Loop: Header=BB10_19 Depth=1
	v_lshlrev_b64 v[6:7], 2, v[2:3]
	v_add_co_u32_e64 v6, s[0:1], v17, v6
	v_addc_co_u32_e64 v7, s[0:1], v18, v7, s[0:1]
	v_cmp_lt_i32_e64 s[0:1], -1, v2
	s_and_b64 s[22:23], s[0:1], exec
; %bb.22:                               ;   in Loop: Header=BB10_19 Depth=1
	s_or_saveexec_b64 s[24:25], s[24:25]
	v_mov_b32_e32 v9, v5
	v_mov_b32_e32 v8, v4
	s_xor_b64 exec, exec, s[24:25]
	s_cbranch_execz .LBB10_26
; %bb.23:                               ;   in Loop: Header=BB10_19 Depth=1
	v_add_u32_e32 v10, v19, v4
	v_cmp_lt_i32_e64 s[0:1], -1, v10
	s_mov_b64 s[28:29], s[22:23]
                                        ; implicit-def: $vgpr6_vgpr7
                                        ; implicit-def: $vgpr8_vgpr9
	s_and_saveexec_b64 s[26:27], s[0:1]
; %bb.24:                               ;   in Loop: Header=BB10_19 Depth=1
	v_mov_b32_e32 v11, v3
	v_lshlrev_b64 v[6:7], 2, v[10:11]
	v_mov_b32_e32 v1, v3
	v_add_co_u32_e64 v6, s[0:1], v14, v6
	v_mov_b32_e32 v9, v1
	v_addc_co_u32_e64 v7, s[0:1], v15, v7, s[0:1]
	s_or_b64 s[28:29], s[22:23], exec
	v_mov_b32_e32 v8, v0
; %bb.25:                               ;   in Loop: Header=BB10_19 Depth=1
	s_or_b64 exec, exec, s[26:27]
	s_andn2_b64 s[0:1], s[22:23], exec
	s_and_b64 s[22:23], s[28:29], exec
	s_or_b64 s[22:23], s[0:1], s[22:23]
.LBB10_26:                              ;   in Loop: Header=BB10_19 Depth=1
	s_or_b64 exec, exec, s[24:25]
	s_and_saveexec_b64 s[24:25], s[22:23]
	s_cbranch_execz .LBB10_17
; %bb.27:                               ;   in Loop: Header=BB10_19 Depth=1
	v_mul_lo_u32 v1, v9, s14
	v_mul_lo_u32 v10, v8, s15
	v_mad_u64_u32 v[8:9], s[0:1], v8, s14, 0
	flat_load_dword v11, v[6:7]
	v_add3_u32 v9, v9, v10, v1
	v_lshlrev_b64 v[6:7], 2, v[8:9]
	v_mov_b32_e32 v1, s13
	v_add_co_u32_e64 v6, s[0:1], s12, v6
	v_addc_co_u32_e64 v7, s[0:1], v1, v7, s[0:1]
	flat_load_dword v1, v[6:7]
	s_waitcnt vmcnt(0) lgkmcnt(0)
	v_fmac_f32_e32 v16, v11, v1
	s_branch .LBB10_17
.LBB10_28:
	s_or_b64 exec, exec, s[18:19]
.LBB10_29:
	s_or_b64 exec, exec, s[6:7]
	v_add_u32_e32 v4, s33, v12
	v_cmp_gt_u32_e32 vcc, 64, v12
	v_cmp_gt_i32_e64 s[0:1], s8, v4
	v_lshlrev_b32_e32 v3, 2, v12
	s_and_b64 s[6:7], vcc, s[0:1]
	ds_write_b32 v3, v16
	s_waitcnt lgkmcnt(0)
	s_barrier
                                        ; implicit-def: $vgpr2
                                        ; implicit-def: $vgpr0_vgpr1
	s_and_saveexec_b64 s[0:1], s[6:7]
	s_cbranch_execz .LBB10_33
; %bb.30:
	ds_read2st64_b32 v[0:1], v3 offset1:1
	ds_read2st64_b32 v[5:6], v3 offset0:2 offset1:3
	ds_read2st64_b32 v[7:8], v3 offset0:4 offset1:5
	;; [unrolled: 1-line block ×4, first 2 shown]
	s_waitcnt lgkmcnt(4)
	v_add_f32_e32 v0, v0, v1
	s_waitcnt lgkmcnt(3)
	v_add_f32_e32 v0, v5, v0
	v_add_f32_e32 v0, v6, v0
	s_waitcnt lgkmcnt(2)
	v_add_f32_e32 v0, v7, v0
	;; [unrolled: 3-line block ×3, first 2 shown]
	v_add_f32_e32 v2, v10, v0
	ds_read2st64_b32 v[0:1], v3 offset0:10 offset1:11
	ds_read2st64_b32 v[5:6], v3 offset0:12 offset1:13
	;; [unrolled: 1-line block ×3, first 2 shown]
	s_waitcnt lgkmcnt(3)
	v_add_f32_e32 v2, v11, v2
	v_add_f32_e32 v2, v12, v2
	s_waitcnt lgkmcnt(2)
	v_add_f32_e32 v0, v0, v2
	v_add_f32_e32 v0, v1, v0
	;; [unrolled: 3-line block ×4, first 2 shown]
	v_ashrrev_i32_e32 v0, 31, v4
	v_mul_lo_u32 v5, s3, v4
	v_mul_lo_u32 v6, s2, v0
	v_mad_u64_u32 v[0:1], s[2:3], s2, v4, 0
	v_cmp_eq_f32_e64 s[2:3], s11, 0
	ds_write_b32 v3, v2
	v_mul_f32_e32 v2, s10, v2
	v_add3_u32 v1, v1, v6, v5
	s_and_b64 vcc, exec, s[2:3]
	s_cbranch_vccnz .LBB10_32
; %bb.31:
	v_lshlrev_b64 v[3:4], 2, v[0:1]
	v_mov_b32_e32 v5, s31
	v_add_co_u32_e32 v3, vcc, s30, v3
	v_addc_co_u32_e32 v4, vcc, v5, v4, vcc
	flat_load_dword v3, v[3:4]
	s_waitcnt vmcnt(0) lgkmcnt(0)
	v_fmac_f32_e32 v2, s11, v3
.LBB10_32:
	s_or_b64 s[4:5], s[4:5], exec
.LBB10_33:
	s_or_b64 exec, exec, s[0:1]
.LBB10_34:
	s_and_saveexec_b64 s[0:1], s[4:5]
	s_cbranch_execz .LBB10_36
; %bb.35:
	v_lshlrev_b64 v[0:1], 2, v[0:1]
	v_mov_b32_e32 v3, s31
	v_add_co_u32_e32 v0, vcc, s30, v0
	v_addc_co_u32_e32 v1, vcc, v3, v1, vcc
	flat_store_dword v[0:1], v2
.LBB10_36:
	s_endpgm
	.section	.rodata,"a",@progbits
	.p2align	6, 0x0
	.amdhsa_kernel _ZL19rocblas_sbmv_kernelILb1ELi64ELi16EfPKPKfPKPfEviiT2_lT3_lllS8_lllS7_lT4_llli
		.amdhsa_group_segment_fixed_size 4096
		.amdhsa_private_segment_fixed_size 0
		.amdhsa_kernarg_size 400
		.amdhsa_user_sgpr_count 6
		.amdhsa_user_sgpr_private_segment_buffer 1
		.amdhsa_user_sgpr_dispatch_ptr 0
		.amdhsa_user_sgpr_queue_ptr 0
		.amdhsa_user_sgpr_kernarg_segment_ptr 1
		.amdhsa_user_sgpr_dispatch_id 0
		.amdhsa_user_sgpr_flat_scratch_init 0
		.amdhsa_user_sgpr_private_segment_size 0
		.amdhsa_uses_dynamic_stack 0
		.amdhsa_system_sgpr_private_segment_wavefront_offset 0
		.amdhsa_system_sgpr_workgroup_id_x 1
		.amdhsa_system_sgpr_workgroup_id_y 0
		.amdhsa_system_sgpr_workgroup_id_z 1
		.amdhsa_system_sgpr_workgroup_info 0
		.amdhsa_system_vgpr_workitem_id 1
		.amdhsa_next_free_vgpr 29
		.amdhsa_next_free_sgpr 61
		.amdhsa_reserve_vcc 1
		.amdhsa_reserve_flat_scratch 0
		.amdhsa_float_round_mode_32 0
		.amdhsa_float_round_mode_16_64 0
		.amdhsa_float_denorm_mode_32 3
		.amdhsa_float_denorm_mode_16_64 3
		.amdhsa_dx10_clamp 1
		.amdhsa_ieee_mode 1
		.amdhsa_fp16_overflow 0
		.amdhsa_exception_fp_ieee_invalid_op 0
		.amdhsa_exception_fp_denorm_src 0
		.amdhsa_exception_fp_ieee_div_zero 0
		.amdhsa_exception_fp_ieee_overflow 0
		.amdhsa_exception_fp_ieee_underflow 0
		.amdhsa_exception_fp_ieee_inexact 0
		.amdhsa_exception_int_div_zero 0
	.end_amdhsa_kernel
	.section	.text._ZL19rocblas_sbmv_kernelILb1ELi64ELi16EfPKPKfPKPfEviiT2_lT3_lllS8_lllS7_lT4_llli,"axG",@progbits,_ZL19rocblas_sbmv_kernelILb1ELi64ELi16EfPKPKfPKPfEviiT2_lT3_lllS8_lllS7_lT4_llli,comdat
.Lfunc_end10:
	.size	_ZL19rocblas_sbmv_kernelILb1ELi64ELi16EfPKPKfPKPfEviiT2_lT3_lllS8_lllS7_lT4_llli, .Lfunc_end10-_ZL19rocblas_sbmv_kernelILb1ELi64ELi16EfPKPKfPKPfEviiT2_lT3_lllS8_lllS7_lT4_llli
                                        ; -- End function
	.set _ZL19rocblas_sbmv_kernelILb1ELi64ELi16EfPKPKfPKPfEviiT2_lT3_lllS8_lllS7_lT4_llli.num_vgpr, 21
	.set _ZL19rocblas_sbmv_kernelILb1ELi64ELi16EfPKPKfPKPfEviiT2_lT3_lllS8_lllS7_lT4_llli.num_agpr, 0
	.set _ZL19rocblas_sbmv_kernelILb1ELi64ELi16EfPKPKfPKPfEviiT2_lT3_lllS8_lllS7_lT4_llli.numbered_sgpr, 34
	.set _ZL19rocblas_sbmv_kernelILb1ELi64ELi16EfPKPKfPKPfEviiT2_lT3_lllS8_lllS7_lT4_llli.num_named_barrier, 0
	.set _ZL19rocblas_sbmv_kernelILb1ELi64ELi16EfPKPKfPKPfEviiT2_lT3_lllS8_lllS7_lT4_llli.private_seg_size, 0
	.set _ZL19rocblas_sbmv_kernelILb1ELi64ELi16EfPKPKfPKPfEviiT2_lT3_lllS8_lllS7_lT4_llli.uses_vcc, 1
	.set _ZL19rocblas_sbmv_kernelILb1ELi64ELi16EfPKPKfPKPfEviiT2_lT3_lllS8_lllS7_lT4_llli.uses_flat_scratch, 0
	.set _ZL19rocblas_sbmv_kernelILb1ELi64ELi16EfPKPKfPKPfEviiT2_lT3_lllS8_lllS7_lT4_llli.has_dyn_sized_stack, 0
	.set _ZL19rocblas_sbmv_kernelILb1ELi64ELi16EfPKPKfPKPfEviiT2_lT3_lllS8_lllS7_lT4_llli.has_recursion, 0
	.set _ZL19rocblas_sbmv_kernelILb1ELi64ELi16EfPKPKfPKPfEviiT2_lT3_lllS8_lllS7_lT4_llli.has_indirect_call, 0
	.section	.AMDGPU.csdata,"",@progbits
; Kernel info:
; codeLenInByte = 1408
; TotalNumSgprs: 38
; NumVgprs: 21
; ScratchSize: 0
; MemoryBound: 0
; FloatMode: 240
; IeeeMode: 1
; LDSByteSize: 4096 bytes/workgroup (compile time only)
; SGPRBlocks: 8
; VGPRBlocks: 7
; NumSGPRsForWavesPerEU: 65
; NumVGPRsForWavesPerEU: 29
; Occupancy: 8
; WaveLimiterHint : 1
; COMPUTE_PGM_RSRC2:SCRATCH_EN: 0
; COMPUTE_PGM_RSRC2:USER_SGPR: 6
; COMPUTE_PGM_RSRC2:TRAP_HANDLER: 0
; COMPUTE_PGM_RSRC2:TGID_X_EN: 1
; COMPUTE_PGM_RSRC2:TGID_Y_EN: 0
; COMPUTE_PGM_RSRC2:TGID_Z_EN: 1
; COMPUTE_PGM_RSRC2:TIDIG_COMP_CNT: 1
	.section	.text._ZL19rocblas_sbmv_kernelILb0ELi64ELi16EfPKPKfPKPfEviiT2_lT3_lllS8_lllS7_lT4_llli,"axG",@progbits,_ZL19rocblas_sbmv_kernelILb0ELi64ELi16EfPKPKfPKPfEviiT2_lT3_lllS8_lllS7_lT4_llli,comdat
	.globl	_ZL19rocblas_sbmv_kernelILb0ELi64ELi16EfPKPKfPKPfEviiT2_lT3_lllS8_lllS7_lT4_llli ; -- Begin function _ZL19rocblas_sbmv_kernelILb0ELi64ELi16EfPKPKfPKPfEviiT2_lT3_lllS8_lllS7_lT4_llli
	.p2align	8
	.type	_ZL19rocblas_sbmv_kernelILb0ELi64ELi16EfPKPKfPKPfEviiT2_lT3_lllS8_lllS7_lT4_llli,@function
_ZL19rocblas_sbmv_kernelILb0ELi64ELi16EfPKPKfPKPfEviiT2_lT3_lllS8_lllS7_lT4_llli: ; @_ZL19rocblas_sbmv_kernelILb0ELi64ELi16EfPKPKfPKPfEviiT2_lT3_lllS8_lllS7_lT4_llli
; %bb.0:
	s_load_dwordx2 s[0:1], s[4:5], 0x9c
	s_mov_b32 s20, s7
	s_waitcnt lgkmcnt(0)
	s_lshr_b32 s2, s0, 16
	s_and_b32 s7, s0, 0xffff
	s_and_b32 s1, s1, 0xffff
	s_mul_i32 s0, s2, s7
	s_mul_i32 s0, s0, s1
	s_cmpk_lg_i32 s0, 0x400
	s_cbranch_scc1 .LBB11_36
; %bb.1:
	s_load_dwordx4 s[8:11], s[4:5], 0x0
	s_waitcnt lgkmcnt(0)
	s_load_dword s11, s[4:5], 0x58
	v_cmp_eq_f32_e64 s[22:23], s10, 0
	s_waitcnt lgkmcnt(0)
	v_cmp_eq_f32_e64 s[0:1], s11, 1.0
	s_and_b64 s[0:1], s[22:23], s[0:1]
	s_and_b64 vcc, exec, s[0:1]
	s_cbranch_vccnz .LBB11_36
; %bb.2:
	s_load_dwordx4 s[0:3], s[4:5], 0x18
	s_load_dwordx2 s[16:17], s[4:5], 0x28
	v_cmp_neq_f32_e64 s[24:25], s10, 0
	s_mov_b32 s21, 0
	s_and_b64 vcc, exec, s[24:25]
	s_cbranch_vccnz .LBB11_4
; %bb.3:
	s_mov_b64 s[12:13], 0
	s_mov_b64 s[18:19], 0
	s_cbranch_execz .LBB11_5
	s_branch .LBB11_6
.LBB11_4:
	s_mov_b64 s[12:13], 0
	s_mov_b64 s[18:19], 0
.LBB11_5:
	s_lshl_b64 s[14:15], s[20:21], 3
	s_waitcnt lgkmcnt(0)
	s_add_u32 s0, s0, s14
	s_addc_u32 s1, s1, s15
	s_load_dwordx2 s[0:1], s[0:1], 0x0
	s_lshl_b64 s[2:3], s[2:3], 2
	s_waitcnt lgkmcnt(0)
	s_add_u32 s18, s0, s2
	s_addc_u32 s19, s1, s3
.LBB11_6:
	s_waitcnt lgkmcnt(0)
	s_load_dwordx4 s[0:3], s[4:5], 0x38
	s_load_dwordx2 s[14:15], s[4:5], 0x48
	s_andn2_b64 vcc, exec, s[24:25]
	s_cbranch_vccnz .LBB11_8
; %bb.7:
	s_lshl_b64 s[12:13], s[20:21], 3
	s_waitcnt lgkmcnt(0)
	s_add_u32 s0, s0, s12
	s_addc_u32 s1, s1, s13
	s_load_dwordx2 s[0:1], s[0:1], 0x0
	s_lshl_b64 s[2:3], s[2:3], 2
	s_waitcnt lgkmcnt(0)
	s_add_u32 s12, s0, s2
	s_addc_u32 s13, s1, s3
.LBB11_8:
	s_load_dwordx4 s[24:27], s[4:5], 0x68
	s_waitcnt lgkmcnt(0)
	s_load_dwordx2 s[2:3], s[4:5], 0x78
	s_lshl_b64 s[0:1], s[20:21], 3
	v_mad_u32_u24 v10, v1, s7, v0
	s_add_u32 s0, s24, s0
	s_addc_u32 s1, s25, s1
	s_load_dwordx2 s[0:1], s[0:1], 0x0
	s_lshl_b64 s[4:5], s[26:27], 2
	s_waitcnt lgkmcnt(0)
	s_add_u32 s28, s0, s4
	s_addc_u32 s29, s1, s5
	s_andn2_b64 vcc, exec, s[22:23]
	v_cmp_gt_u32_e64 s[0:1], 64, v10
	s_cbranch_vccnz .LBB11_13
; %bb.9:
	v_lshl_add_u32 v3, s6, 6, v10
	v_cmp_gt_i32_e32 vcc, s8, v3
	s_and_b64 s[22:23], s[0:1], vcc
	s_mov_b64 s[0:1], 0
	s_mov_b64 s[4:5], 0
                                        ; implicit-def: $vgpr2
                                        ; implicit-def: $vgpr0_vgpr1
	s_and_saveexec_b64 s[20:21], s[22:23]
	s_cbranch_execz .LBB11_14
; %bb.10:
	v_ashrrev_i32_e32 v0, 31, v3
	v_mul_lo_u32 v4, s3, v3
	v_mul_lo_u32 v5, s2, v0
	v_mad_u64_u32 v[0:1], s[4:5], s2, v3, 0
	v_cmp_eq_f32_e64 s[4:5], s11, 0
	v_mov_b32_e32 v2, 0
	v_add3_u32 v1, v1, v5, v4
	s_and_b64 vcc, exec, s[4:5]
	s_cbranch_vccnz .LBB11_12
; %bb.11:
	v_lshlrev_b64 v[2:3], 2, v[0:1]
	v_mov_b32_e32 v4, s29
	v_add_co_u32_e32 v2, vcc, s28, v2
	v_addc_co_u32_e32 v3, vcc, v4, v3, vcc
	flat_load_dword v2, v[2:3]
	s_waitcnt vmcnt(0) lgkmcnt(0)
	v_mul_f32_e32 v2, s11, v2
.LBB11_12:
	s_mov_b64 s[4:5], exec
	s_or_b64 exec, exec, s[20:21]
	s_and_b64 vcc, exec, s[0:1]
	s_cbranch_vccnz .LBB11_15
	s_branch .LBB11_34
.LBB11_13:
	s_mov_b64 s[4:5], 0
                                        ; implicit-def: $vgpr2
                                        ; implicit-def: $vgpr0_vgpr1
	s_cbranch_execnz .LBB11_15
	s_branch .LBB11_34
.LBB11_14:
	s_or_b64 exec, exec, s[20:21]
	s_and_b64 vcc, exec, s[0:1]
	s_cbranch_vccz .LBB11_34
.LBB11_15:
	v_lshrrev_b32_e32 v0, 6, v10
	s_lshl_b32 s30, s6, 6
	v_cmp_gt_i32_e32 vcc, s8, v0
	v_mov_b32_e32 v14, 0
	s_and_saveexec_b64 s[6:7], vcc
	s_cbranch_execz .LBB11_29
; %bb.16:
	v_and_b32_e32 v3, 63, v10
	v_or_b32_e32 v11, s30, v3
	v_mul_lo_u32 v4, s17, v11
	v_mad_u64_u32 v[1:2], s[0:1], s16, v11, 0
	s_ashr_i32 s0, s30, 31
	s_mul_i32 s0, s16, s0
	v_add3_u32 v2, v2, s0, v4
	v_add_u32_e32 v4, s30, v3
	v_ashrrev_i32_e32 v5, 31, v4
	s_lshl_b64 s[20:21], s[16:17], 2
	v_lshlrev_b64 v[5:6], 2, v[4:5]
	s_add_u32 s0, s20, -4
	v_lshlrev_b64 v[1:2], 2, v[1:2]
	v_mad_u64_u32 v[5:6], s[0:1], v0, s0, v[5:6]
	v_mov_b32_e32 v8, s19
	v_add_co_u32_e64 v12, s[0:1], s18, v1
	v_addc_co_u32_e64 v13, s[0:1], v8, v2, s[0:1]
	s_addc_u32 s0, s21, -1
	v_mov_b32_e32 v2, v6
	v_mad_u64_u32 v[6:7], s[0:1], v0, s0, v[2:3]
	v_add_co_u32_e64 v2, s[0:1], s18, v5
	v_addc_co_u32_e64 v3, s[0:1], v8, v6, s[0:1]
	s_lshl_b64 s[0:1], s[16:17], 6
	v_mov_b32_e32 v1, 0
	s_add_u32 s31, s0, 0xffffffc0
	s_addc_u32 s0, s1, -1
	v_sub_u32_e32 v15, 0, v4
	v_sub_u32_e32 v16, v4, v0
	v_mov_b32_e32 v5, v1
	v_cmp_gt_i32_e32 vcc, s8, v11
	s_mov_b64 s[16:17], 0
	v_mov_b32_e32 v17, s0
	v_mov_b32_e32 v4, v0
	;; [unrolled: 1-line block ×3, first 2 shown]
	s_branch .LBB11_19
.LBB11_17:                              ;   in Loop: Header=BB11_19 Depth=1
	s_or_b64 exec, exec, s[22:23]
.LBB11_18:                              ;   in Loop: Header=BB11_19 Depth=1
	s_or_b64 exec, exec, s[18:19]
	v_add_co_u32_e64 v4, s[0:1], 16, v4
	v_addc_co_u32_e64 v5, s[0:1], 0, v5, s[0:1]
	v_add_co_u32_e64 v2, s[0:1], s31, v2
	v_addc_co_u32_e64 v3, s[0:1], v3, v17, s[0:1]
	v_cmp_le_i32_e64 s[0:1], s8, v4
	v_add_u32_e32 v0, 16, v0
	s_or_b64 s[16:17], s[0:1], s[16:17]
	v_add_u32_e32 v16, -16, v16
	s_andn2_b64 exec, exec, s[16:17]
	s_cbranch_execz .LBB11_28
.LBB11_19:                              ; =>This Inner Loop Header: Depth=1
	s_and_saveexec_b64 s[18:19], vcc
	s_cbranch_execz .LBB11_18
; %bb.20:                               ;   in Loop: Header=BB11_19 Depth=1
	v_cmp_ge_i32_e64 s[0:1], v11, v4
	s_mov_b64 s[20:21], 0
	s_and_saveexec_b64 s[22:23], s[0:1]
	s_xor_b64 s[22:23], exec, s[22:23]
; %bb.21:                               ;   in Loop: Header=BB11_19 Depth=1
	v_cmp_ge_i32_e64 s[0:1], s9, v16
	s_and_b64 s[20:21], s[0:1], exec
; %bb.22:                               ;   in Loop: Header=BB11_19 Depth=1
	s_or_saveexec_b64 s[22:23], s[22:23]
	v_mov_b32_e32 v7, v3
	v_mov_b32_e32 v9, v5
	;; [unrolled: 1-line block ×4, first 2 shown]
	s_xor_b64 exec, exec, s[22:23]
	s_cbranch_execz .LBB11_26
; %bb.23:                               ;   in Loop: Header=BB11_19 Depth=1
	v_add_u32_e32 v6, v15, v4
	v_cmp_ge_i32_e64 s[0:1], s9, v6
	s_mov_b64 s[26:27], s[20:21]
                                        ; implicit-def: $vgpr6_vgpr7
                                        ; implicit-def: $vgpr8_vgpr9
	s_and_saveexec_b64 s[24:25], s[0:1]
; %bb.24:                               ;   in Loop: Header=BB11_19 Depth=1
	v_sub_u32_e32 v6, v0, v11
	v_ashrrev_i32_e32 v7, 31, v6
	v_lshlrev_b64 v[6:7], 2, v[6:7]
	v_mov_b32_e32 v9, v1
	v_add_co_u32_e64 v6, s[0:1], v12, v6
	v_addc_co_u32_e64 v7, s[0:1], v13, v7, s[0:1]
	s_or_b64 s[26:27], s[20:21], exec
	v_mov_b32_e32 v8, v0
; %bb.25:                               ;   in Loop: Header=BB11_19 Depth=1
	s_or_b64 exec, exec, s[24:25]
	s_andn2_b64 s[0:1], s[20:21], exec
	s_and_b64 s[20:21], s[26:27], exec
	s_or_b64 s[20:21], s[0:1], s[20:21]
.LBB11_26:                              ;   in Loop: Header=BB11_19 Depth=1
	s_or_b64 exec, exec, s[22:23]
	s_and_saveexec_b64 s[22:23], s[20:21]
	s_cbranch_execz .LBB11_17
; %bb.27:                               ;   in Loop: Header=BB11_19 Depth=1
	v_mul_lo_u32 v18, v9, s14
	v_mul_lo_u32 v19, v8, s15
	v_mad_u64_u32 v[8:9], s[0:1], v8, s14, 0
	flat_load_dword v20, v[6:7]
	v_add3_u32 v9, v9, v19, v18
	v_lshlrev_b64 v[6:7], 2, v[8:9]
	v_mov_b32_e32 v8, s13
	v_add_co_u32_e64 v6, s[0:1], s12, v6
	v_addc_co_u32_e64 v7, s[0:1], v8, v7, s[0:1]
	flat_load_dword v6, v[6:7]
	s_waitcnt vmcnt(0) lgkmcnt(0)
	v_fmac_f32_e32 v14, v20, v6
	s_branch .LBB11_17
.LBB11_28:
	s_or_b64 exec, exec, s[16:17]
.LBB11_29:
	s_or_b64 exec, exec, s[6:7]
	v_add_u32_e32 v4, s30, v10
	v_cmp_gt_u32_e32 vcc, 64, v10
	v_cmp_gt_i32_e64 s[0:1], s8, v4
	v_lshlrev_b32_e32 v3, 2, v10
	s_and_b64 s[6:7], vcc, s[0:1]
	ds_write_b32 v3, v14
	s_waitcnt lgkmcnt(0)
	s_barrier
                                        ; implicit-def: $vgpr2
                                        ; implicit-def: $vgpr0_vgpr1
	s_and_saveexec_b64 s[0:1], s[6:7]
	s_cbranch_execz .LBB11_33
; %bb.30:
	ds_read2st64_b32 v[0:1], v3 offset1:1
	ds_read2st64_b32 v[5:6], v3 offset0:2 offset1:3
	ds_read2st64_b32 v[7:8], v3 offset0:4 offset1:5
	;; [unrolled: 1-line block ×4, first 2 shown]
	s_waitcnt lgkmcnt(4)
	v_add_f32_e32 v0, v0, v1
	s_waitcnt lgkmcnt(3)
	v_add_f32_e32 v0, v5, v0
	v_add_f32_e32 v0, v6, v0
	s_waitcnt lgkmcnt(2)
	v_add_f32_e32 v0, v7, v0
	;; [unrolled: 3-line block ×3, first 2 shown]
	v_add_f32_e32 v2, v10, v0
	ds_read2st64_b32 v[0:1], v3 offset0:10 offset1:11
	ds_read2st64_b32 v[5:6], v3 offset0:12 offset1:13
	;; [unrolled: 1-line block ×3, first 2 shown]
	s_waitcnt lgkmcnt(3)
	v_add_f32_e32 v2, v11, v2
	v_add_f32_e32 v2, v12, v2
	s_waitcnt lgkmcnt(2)
	v_add_f32_e32 v0, v0, v2
	v_add_f32_e32 v0, v1, v0
	s_waitcnt lgkmcnt(1)
	v_add_f32_e32 v0, v5, v0
	v_add_f32_e32 v0, v6, v0
	s_waitcnt lgkmcnt(0)
	v_add_f32_e32 v0, v7, v0
	v_add_f32_e32 v2, v8, v0
	v_ashrrev_i32_e32 v0, 31, v4
	v_mul_lo_u32 v5, s3, v4
	v_mul_lo_u32 v6, s2, v0
	v_mad_u64_u32 v[0:1], s[2:3], s2, v4, 0
	v_cmp_eq_f32_e64 s[2:3], s11, 0
	ds_write_b32 v3, v2
	v_mul_f32_e32 v2, s10, v2
	v_add3_u32 v1, v1, v6, v5
	s_and_b64 vcc, exec, s[2:3]
	s_cbranch_vccnz .LBB11_32
; %bb.31:
	v_lshlrev_b64 v[3:4], 2, v[0:1]
	v_mov_b32_e32 v5, s29
	v_add_co_u32_e32 v3, vcc, s28, v3
	v_addc_co_u32_e32 v4, vcc, v5, v4, vcc
	flat_load_dword v3, v[3:4]
	s_waitcnt vmcnt(0) lgkmcnt(0)
	v_fmac_f32_e32 v2, s11, v3
.LBB11_32:
	s_or_b64 s[4:5], s[4:5], exec
.LBB11_33:
	s_or_b64 exec, exec, s[0:1]
.LBB11_34:
	s_and_saveexec_b64 s[0:1], s[4:5]
	s_cbranch_execz .LBB11_36
; %bb.35:
	v_lshlrev_b64 v[0:1], 2, v[0:1]
	v_mov_b32_e32 v3, s29
	v_add_co_u32_e32 v0, vcc, s28, v0
	v_addc_co_u32_e32 v1, vcc, v3, v1, vcc
	flat_store_dword v[0:1], v2
.LBB11_36:
	s_endpgm
	.section	.rodata,"a",@progbits
	.p2align	6, 0x0
	.amdhsa_kernel _ZL19rocblas_sbmv_kernelILb0ELi64ELi16EfPKPKfPKPfEviiT2_lT3_lllS8_lllS7_lT4_llli
		.amdhsa_group_segment_fixed_size 4096
		.amdhsa_private_segment_fixed_size 0
		.amdhsa_kernarg_size 400
		.amdhsa_user_sgpr_count 6
		.amdhsa_user_sgpr_private_segment_buffer 1
		.amdhsa_user_sgpr_dispatch_ptr 0
		.amdhsa_user_sgpr_queue_ptr 0
		.amdhsa_user_sgpr_kernarg_segment_ptr 1
		.amdhsa_user_sgpr_dispatch_id 0
		.amdhsa_user_sgpr_flat_scratch_init 0
		.amdhsa_user_sgpr_private_segment_size 0
		.amdhsa_uses_dynamic_stack 0
		.amdhsa_system_sgpr_private_segment_wavefront_offset 0
		.amdhsa_system_sgpr_workgroup_id_x 1
		.amdhsa_system_sgpr_workgroup_id_y 0
		.amdhsa_system_sgpr_workgroup_id_z 1
		.amdhsa_system_sgpr_workgroup_info 0
		.amdhsa_system_vgpr_workitem_id 1
		.amdhsa_next_free_vgpr 29
		.amdhsa_next_free_sgpr 61
		.amdhsa_reserve_vcc 1
		.amdhsa_reserve_flat_scratch 0
		.amdhsa_float_round_mode_32 0
		.amdhsa_float_round_mode_16_64 0
		.amdhsa_float_denorm_mode_32 3
		.amdhsa_float_denorm_mode_16_64 3
		.amdhsa_dx10_clamp 1
		.amdhsa_ieee_mode 1
		.amdhsa_fp16_overflow 0
		.amdhsa_exception_fp_ieee_invalid_op 0
		.amdhsa_exception_fp_denorm_src 0
		.amdhsa_exception_fp_ieee_div_zero 0
		.amdhsa_exception_fp_ieee_overflow 0
		.amdhsa_exception_fp_ieee_underflow 0
		.amdhsa_exception_fp_ieee_inexact 0
		.amdhsa_exception_int_div_zero 0
	.end_amdhsa_kernel
	.section	.text._ZL19rocblas_sbmv_kernelILb0ELi64ELi16EfPKPKfPKPfEviiT2_lT3_lllS8_lllS7_lT4_llli,"axG",@progbits,_ZL19rocblas_sbmv_kernelILb0ELi64ELi16EfPKPKfPKPfEviiT2_lT3_lllS8_lllS7_lT4_llli,comdat
.Lfunc_end11:
	.size	_ZL19rocblas_sbmv_kernelILb0ELi64ELi16EfPKPKfPKPfEviiT2_lT3_lllS8_lllS7_lT4_llli, .Lfunc_end11-_ZL19rocblas_sbmv_kernelILb0ELi64ELi16EfPKPKfPKPfEviiT2_lT3_lllS8_lllS7_lT4_llli
                                        ; -- End function
	.set _ZL19rocblas_sbmv_kernelILb0ELi64ELi16EfPKPKfPKPfEviiT2_lT3_lllS8_lllS7_lT4_llli.num_vgpr, 21
	.set _ZL19rocblas_sbmv_kernelILb0ELi64ELi16EfPKPKfPKPfEviiT2_lT3_lllS8_lllS7_lT4_llli.num_agpr, 0
	.set _ZL19rocblas_sbmv_kernelILb0ELi64ELi16EfPKPKfPKPfEviiT2_lT3_lllS8_lllS7_lT4_llli.numbered_sgpr, 32
	.set _ZL19rocblas_sbmv_kernelILb0ELi64ELi16EfPKPKfPKPfEviiT2_lT3_lllS8_lllS7_lT4_llli.num_named_barrier, 0
	.set _ZL19rocblas_sbmv_kernelILb0ELi64ELi16EfPKPKfPKPfEviiT2_lT3_lllS8_lllS7_lT4_llli.private_seg_size, 0
	.set _ZL19rocblas_sbmv_kernelILb0ELi64ELi16EfPKPKfPKPfEviiT2_lT3_lllS8_lllS7_lT4_llli.uses_vcc, 1
	.set _ZL19rocblas_sbmv_kernelILb0ELi64ELi16EfPKPKfPKPfEviiT2_lT3_lllS8_lllS7_lT4_llli.uses_flat_scratch, 0
	.set _ZL19rocblas_sbmv_kernelILb0ELi64ELi16EfPKPKfPKPfEviiT2_lT3_lllS8_lllS7_lT4_llli.has_dyn_sized_stack, 0
	.set _ZL19rocblas_sbmv_kernelILb0ELi64ELi16EfPKPKfPKPfEviiT2_lT3_lllS8_lllS7_lT4_llli.has_recursion, 0
	.set _ZL19rocblas_sbmv_kernelILb0ELi64ELi16EfPKPKfPKPfEviiT2_lT3_lllS8_lllS7_lT4_llli.has_indirect_call, 0
	.section	.AMDGPU.csdata,"",@progbits
; Kernel info:
; codeLenInByte = 1408
; TotalNumSgprs: 36
; NumVgprs: 21
; ScratchSize: 0
; MemoryBound: 0
; FloatMode: 240
; IeeeMode: 1
; LDSByteSize: 4096 bytes/workgroup (compile time only)
; SGPRBlocks: 8
; VGPRBlocks: 7
; NumSGPRsForWavesPerEU: 65
; NumVGPRsForWavesPerEU: 29
; Occupancy: 8
; WaveLimiterHint : 1
; COMPUTE_PGM_RSRC2:SCRATCH_EN: 0
; COMPUTE_PGM_RSRC2:USER_SGPR: 6
; COMPUTE_PGM_RSRC2:TRAP_HANDLER: 0
; COMPUTE_PGM_RSRC2:TGID_X_EN: 1
; COMPUTE_PGM_RSRC2:TGID_Y_EN: 0
; COMPUTE_PGM_RSRC2:TGID_Z_EN: 1
; COMPUTE_PGM_RSRC2:TIDIG_COMP_CNT: 1
	.section	.text._ZL19rocblas_sbmv_kernelILb1ELi64ELi16EPKdPKS1_PKPdEviiT2_lT3_lllS8_lllS7_lT4_llli,"axG",@progbits,_ZL19rocblas_sbmv_kernelILb1ELi64ELi16EPKdPKS1_PKPdEviiT2_lT3_lllS8_lllS7_lT4_llli,comdat
	.globl	_ZL19rocblas_sbmv_kernelILb1ELi64ELi16EPKdPKS1_PKPdEviiT2_lT3_lllS8_lllS7_lT4_llli ; -- Begin function _ZL19rocblas_sbmv_kernelILb1ELi64ELi16EPKdPKS1_PKPdEviiT2_lT3_lllS8_lllS7_lT4_llli
	.p2align	8
	.type	_ZL19rocblas_sbmv_kernelILb1ELi64ELi16EPKdPKS1_PKPdEviiT2_lT3_lllS8_lllS7_lT4_llli,@function
_ZL19rocblas_sbmv_kernelILb1ELi64ELi16EPKdPKS1_PKPdEviiT2_lT3_lllS8_lllS7_lT4_llli: ; @_ZL19rocblas_sbmv_kernelILb1ELi64ELi16EPKdPKS1_PKPdEviiT2_lT3_lllS8_lllS7_lT4_llli
; %bb.0:
	s_load_dwordx2 s[0:1], s[4:5], 0x9c
	s_mov_b32 s28, s7
	s_waitcnt lgkmcnt(0)
	s_lshr_b32 s2, s0, 16
	s_and_b32 s7, s0, 0xffff
	s_and_b32 s1, s1, 0xffff
	s_mul_i32 s0, s2, s7
	s_mul_i32 s0, s0, s1
	s_cmpk_lg_i32 s0, 0x400
	s_cbranch_scc1 .LBB12_34
; %bb.1:
	s_load_dwordx8 s[16:23], s[4:5], 0x8
	s_load_dwordx8 s[8:15], s[4:5], 0x58
	s_waitcnt lgkmcnt(0)
	s_mul_i32 s1, s19, s28
	s_mul_hi_u32 s2, s18, s28
	s_mul_i32 s0, s18, s28
	s_add_i32 s1, s2, s1
	s_lshl_b64 s[0:1], s[0:1], 3
	s_add_u32 s0, s16, s0
	s_addc_u32 s1, s17, s1
	s_mul_i32 s3, s11, s28
	s_load_dwordx2 s[16:17], s[0:1], 0x0
	s_mul_hi_u32 s0, s10, s28
	s_add_i32 s1, s0, s3
	s_mul_i32 s0, s10, s28
	s_lshl_b64 s[0:1], s[0:1], 3
	s_add_u32 s0, s8, s0
	s_addc_u32 s1, s9, s1
	s_load_dwordx2 s[8:9], s[0:1], 0x0
	s_waitcnt lgkmcnt(0)
	v_cmp_eq_f64_e64 s[30:31], s[16:17], 0
	v_cmp_eq_f64_e64 s[0:1], s[8:9], 1.0
	s_and_b64 s[0:1], s[30:31], s[0:1]
	s_and_b64 vcc, exec, s[0:1]
	s_cbranch_vccnz .LBB12_34
; %bb.2:
	v_cmp_neq_f64_e64 s[34:35], s[16:17], 0
	s_load_dwordx2 s[24:25], s[4:5], 0x28
	s_load_dwordx2 s[10:11], s[4:5], 0x78
	s_mov_b32 s29, 0
	s_mov_b64 s[18:19], 0
	s_and_b64 vcc, exec, s[30:31]
	s_mov_b64 s[26:27], 0
	s_cbranch_vccnz .LBB12_4
; %bb.3:
	s_lshl_b64 s[0:1], s[28:29], 3
	s_add_u32 s0, s20, s0
	s_addc_u32 s1, s21, s1
	s_load_dwordx2 s[0:1], s[0:1], 0x0
	s_lshl_b64 s[2:3], s[22:23], 3
	s_waitcnt lgkmcnt(0)
	s_add_u32 s26, s0, s2
	s_addc_u32 s27, s1, s3
.LBB12_4:
	s_load_dwordx4 s[0:3], s[4:5], 0x38
	s_load_dwordx2 s[20:21], s[4:5], 0x48
	s_andn2_b64 vcc, exec, s[34:35]
	s_cbranch_vccnz .LBB12_6
; %bb.5:
	s_lshl_b64 s[18:19], s[28:29], 3
	s_waitcnt lgkmcnt(0)
	s_add_u32 s0, s0, s18
	s_addc_u32 s1, s1, s19
	s_load_dwordx2 s[0:1], s[0:1], 0x0
	s_lshl_b64 s[2:3], s[2:3], 3
	s_waitcnt lgkmcnt(0)
	s_add_u32 s18, s0, s2
	s_addc_u32 s19, s1, s3
.LBB12_6:
	s_waitcnt lgkmcnt(0)
	s_lshl_b64 s[0:1], s[28:29], 3
	s_add_u32 s0, s12, s0
	s_addc_u32 s1, s13, s1
	s_load_dwordx2 s[2:3], s[0:1], 0x0
	s_load_dwordx2 s[12:13], s[4:5], 0x0
	s_lshl_b64 s[0:1], s[14:15], 3
	v_mad_u32_u24 v14, v1, s7, v0
	s_waitcnt lgkmcnt(0)
	s_add_u32 s33, s2, s0
	s_addc_u32 s34, s3, s1
	s_andn2_b64 vcc, exec, s[30:31]
	v_cmp_gt_u32_e64 s[0:1], 64, v14
	s_cbranch_vccnz .LBB12_11
; %bb.7:
	v_lshl_add_u32 v4, s6, 6, v14
	v_cmp_gt_i32_e32 vcc, s12, v4
	s_and_b64 s[14:15], s[0:1], vcc
	s_mov_b64 s[0:1], 0
	s_mov_b64 s[2:3], 0
                                        ; implicit-def: $vgpr0_vgpr1
                                        ; implicit-def: $vgpr2_vgpr3
	s_and_saveexec_b64 s[4:5], s[14:15]
	s_cbranch_execz .LBB12_12
; %bb.8:
	v_cmp_eq_f64_e64 s[2:3], s[8:9], 0
	v_ashrrev_i32_e32 v0, 31, v4
	v_mul_lo_u32 v5, s11, v4
	v_mul_lo_u32 v6, s10, v0
	v_mad_u64_u32 v[2:3], s[14:15], s10, v4, 0
	v_mov_b32_e32 v0, 0
	v_mov_b32_e32 v1, 0
	v_add3_u32 v3, v3, v6, v5
	s_and_b64 vcc, exec, s[2:3]
	s_cbranch_vccnz .LBB12_10
; %bb.9:
	v_lshlrev_b64 v[0:1], 3, v[2:3]
	v_mov_b32_e32 v4, s34
	v_add_co_u32_e32 v0, vcc, s33, v0
	v_addc_co_u32_e32 v1, vcc, v4, v1, vcc
	flat_load_dwordx2 v[0:1], v[0:1]
	s_waitcnt vmcnt(0) lgkmcnt(0)
	v_mul_f64 v[0:1], s[8:9], v[0:1]
.LBB12_10:
	s_mov_b64 s[2:3], exec
	s_or_b64 exec, exec, s[4:5]
	s_and_b64 vcc, exec, s[0:1]
	s_cbranch_vccnz .LBB12_13
	s_branch .LBB12_32
.LBB12_11:
	s_mov_b64 s[2:3], 0
                                        ; implicit-def: $vgpr0_vgpr1
                                        ; implicit-def: $vgpr2_vgpr3
	s_cbranch_execnz .LBB12_13
	s_branch .LBB12_32
.LBB12_12:
	s_or_b64 exec, exec, s[4:5]
	s_and_b64 vcc, exec, s[0:1]
	s_cbranch_vccz .LBB12_32
.LBB12_13:
	v_lshrrev_b32_e32 v0, 6, v14
	v_mov_b32_e32 v2, 0
	s_lshl_b32 s35, s6, 6
	v_mov_b32_e32 v3, 0
	v_cmp_gt_i32_e32 vcc, s12, v0
	s_and_saveexec_b64 s[4:5], vcc
	s_cbranch_execz .LBB12_27
; %bb.14:
	v_and_b32_e32 v6, 63, v14
	v_or_b32_e32 v15, s35, v6
	v_mul_lo_u32 v5, s25, v15
	v_mad_u64_u32 v[1:2], s[0:1], s24, v15, 0
	v_mad_u64_u32 v[3:4], s[0:1], s24, v0, 0
	s_ashr_i32 s6, s35, 31
	s_mul_i32 s6, s24, s6
	v_add3_u32 v2, v2, s6, v5
	v_mad_u64_u32 v[4:5], s[0:1], s25, v0, v[4:5]
	v_lshlrev_b64 v[1:2], 3, v[1:2]
	v_mov_b32_e32 v7, s27
	v_add_co_u32_e64 v16, s[0:1], s26, v1
	v_addc_co_u32_e64 v17, s[0:1], v7, v2, s[0:1]
	v_lshlrev_b64 v[2:3], 3, v[3:4]
	v_mov_b32_e32 v5, 0
	v_add_co_u32_e64 v18, s[0:1], s26, v2
	v_addc_co_u32_e64 v19, s[0:1], v7, v3, s[0:1]
	s_add_i32 s0, s13, s35
	v_add_u32_e32 v2, s0, v6
	v_mov_b32_e32 v1, v5
	v_sub_u32_e32 v4, v2, v0
	v_sub_u32_e32 v2, s13, v6
	v_subrev_u32_e32 v20, s35, v2
	v_mov_b32_e32 v2, 0
	v_mov_b32_e32 v7, v1
	v_cmp_gt_i32_e32 vcc, s12, v15
	s_lshl_b64 s[6:7], s[24:25], 7
	v_mov_b32_e32 v3, 0
	s_mov_b64 s[14:15], 0
	v_mov_b32_e32 v6, v0
	s_branch .LBB12_17
.LBB12_15:                              ;   in Loop: Header=BB12_17 Depth=1
	s_or_b64 exec, exec, s[26:27]
.LBB12_16:                              ;   in Loop: Header=BB12_17 Depth=1
	s_or_b64 exec, exec, s[22:23]
	v_add_co_u32_e64 v6, s[0:1], 16, v6
	v_addc_co_u32_e64 v7, s[0:1], 0, v7, s[0:1]
	v_mov_b32_e32 v1, s7
	v_add_co_u32_e64 v18, s[0:1], s6, v18
	v_addc_co_u32_e64 v19, s[0:1], v19, v1, s[0:1]
	v_cmp_le_i32_e64 s[0:1], s12, v6
	v_add_u32_e32 v0, 16, v0
	s_or_b64 s[14:15], s[0:1], s[14:15]
	v_add_u32_e32 v4, -16, v4
	s_andn2_b64 exec, exec, s[14:15]
	s_cbranch_execz .LBB12_26
.LBB12_17:                              ; =>This Inner Loop Header: Depth=1
	s_and_saveexec_b64 s[22:23], vcc
	s_cbranch_execz .LBB12_16
; %bb.18:                               ;   in Loop: Header=BB12_17 Depth=1
	v_cmp_le_i32_e64 s[0:1], v15, v6
	s_mov_b64 s[24:25], 0
                                        ; implicit-def: $vgpr8_vgpr9
	s_and_saveexec_b64 s[26:27], s[0:1]
	s_xor_b64 s[26:27], exec, s[26:27]
; %bb.19:                               ;   in Loop: Header=BB12_17 Depth=1
	v_lshlrev_b64 v[8:9], 3, v[4:5]
	v_add_co_u32_e64 v8, s[0:1], v18, v8
	v_addc_co_u32_e64 v9, s[0:1], v19, v9, s[0:1]
	v_cmp_lt_i32_e64 s[0:1], -1, v4
	s_and_b64 s[24:25], s[0:1], exec
; %bb.20:                               ;   in Loop: Header=BB12_17 Depth=1
	s_or_saveexec_b64 s[26:27], s[26:27]
	v_mov_b32_e32 v11, v7
	v_mov_b32_e32 v10, v6
	s_xor_b64 exec, exec, s[26:27]
	s_cbranch_execz .LBB12_24
; %bb.21:                               ;   in Loop: Header=BB12_17 Depth=1
	v_add_u32_e32 v12, v20, v6
	v_cmp_lt_i32_e64 s[0:1], -1, v12
	s_mov_b64 s[30:31], s[24:25]
                                        ; implicit-def: $vgpr8_vgpr9
                                        ; implicit-def: $vgpr10_vgpr11
	s_and_saveexec_b64 s[28:29], s[0:1]
; %bb.22:                               ;   in Loop: Header=BB12_17 Depth=1
	v_mov_b32_e32 v13, v5
	v_lshlrev_b64 v[8:9], 3, v[12:13]
	v_mov_b32_e32 v1, v5
	v_add_co_u32_e64 v8, s[0:1], v16, v8
	v_mov_b32_e32 v11, v1
	v_addc_co_u32_e64 v9, s[0:1], v17, v9, s[0:1]
	s_or_b64 s[30:31], s[24:25], exec
	v_mov_b32_e32 v10, v0
; %bb.23:                               ;   in Loop: Header=BB12_17 Depth=1
	s_or_b64 exec, exec, s[28:29]
	s_andn2_b64 s[0:1], s[24:25], exec
	s_and_b64 s[24:25], s[30:31], exec
	s_or_b64 s[24:25], s[0:1], s[24:25]
.LBB12_24:                              ;   in Loop: Header=BB12_17 Depth=1
	s_or_b64 exec, exec, s[26:27]
	s_and_saveexec_b64 s[26:27], s[24:25]
	s_cbranch_execz .LBB12_15
; %bb.25:                               ;   in Loop: Header=BB12_17 Depth=1
	v_mul_lo_u32 v1, v11, s20
	v_mul_lo_u32 v12, v10, s21
	v_mad_u64_u32 v[10:11], s[0:1], v10, s20, 0
	flat_load_dwordx2 v[8:9], v[8:9]
	v_add3_u32 v11, v11, v12, v1
	v_lshlrev_b64 v[10:11], 3, v[10:11]
	v_mov_b32_e32 v1, s19
	v_add_co_u32_e64 v10, s[0:1], s18, v10
	v_addc_co_u32_e64 v11, s[0:1], v1, v11, s[0:1]
	flat_load_dwordx2 v[10:11], v[10:11]
	s_waitcnt vmcnt(0) lgkmcnt(0)
	v_fma_f64 v[2:3], v[8:9], v[10:11], v[2:3]
	s_branch .LBB12_15
.LBB12_26:
	s_or_b64 exec, exec, s[14:15]
.LBB12_27:
	s_or_b64 exec, exec, s[4:5]
	v_add_u32_e32 v5, s35, v14
	v_cmp_gt_u32_e32 vcc, 64, v14
	v_cmp_gt_i32_e64 s[0:1], s12, v5
	v_lshlrev_b32_e32 v4, 3, v14
	s_and_b64 s[4:5], vcc, s[0:1]
	ds_write_b64 v4, v[2:3]
	s_waitcnt lgkmcnt(0)
	s_barrier
                                        ; implicit-def: $vgpr0_vgpr1
                                        ; implicit-def: $vgpr2_vgpr3
	s_and_saveexec_b64 s[0:1], s[4:5]
	s_cbranch_execz .LBB12_31
; %bb.28:
	ds_read2st64_b64 v[0:3], v4 offset1:1
	ds_read2st64_b64 v[6:9], v4 offset0:2 offset1:3
	v_cmp_eq_f64_e64 s[4:5], s[8:9], 0
	s_waitcnt lgkmcnt(1)
	v_add_f64 v[0:1], v[0:1], v[2:3]
	s_and_b64 vcc, exec, s[4:5]
	s_waitcnt lgkmcnt(0)
	v_add_f64 v[0:1], v[6:7], v[0:1]
	v_add_f64 v[10:11], v[8:9], v[0:1]
	ds_read2st64_b64 v[0:3], v4 offset0:4 offset1:5
	ds_read2st64_b64 v[6:9], v4 offset0:6 offset1:7
	s_waitcnt lgkmcnt(1)
	v_add_f64 v[0:1], v[0:1], v[10:11]
	v_add_f64 v[0:1], v[2:3], v[0:1]
	s_waitcnt lgkmcnt(0)
	v_add_f64 v[0:1], v[6:7], v[0:1]
	v_add_f64 v[10:11], v[8:9], v[0:1]
	ds_read2st64_b64 v[0:3], v4 offset0:8 offset1:9
	ds_read2st64_b64 v[6:9], v4 offset0:10 offset1:11
	s_waitcnt lgkmcnt(1)
	v_add_f64 v[0:1], v[0:1], v[10:11]
	v_add_f64 v[0:1], v[2:3], v[0:1]
	;; [unrolled: 8-line block ×3, first 2 shown]
	v_mad_u64_u32 v[2:3], s[6:7], s10, v5, 0
	s_waitcnt lgkmcnt(0)
	v_add_f64 v[0:1], v[6:7], v[0:1]
	v_add_f64 v[6:7], v[8:9], v[0:1]
	v_ashrrev_i32_e32 v0, 31, v5
	v_mul_lo_u32 v9, s10, v0
	v_mul_lo_u32 v8, s11, v5
	v_add3_u32 v3, v3, v9, v8
	v_mul_f64 v[0:1], s[16:17], v[6:7]
	ds_write_b64 v4, v[6:7]
	s_cbranch_vccnz .LBB12_30
; %bb.29:
	v_lshlrev_b64 v[4:5], 3, v[2:3]
	v_mov_b32_e32 v6, s34
	v_add_co_u32_e32 v4, vcc, s33, v4
	v_addc_co_u32_e32 v5, vcc, v6, v5, vcc
	flat_load_dwordx2 v[4:5], v[4:5]
	s_waitcnt vmcnt(0) lgkmcnt(0)
	v_fma_f64 v[0:1], s[8:9], v[4:5], v[0:1]
.LBB12_30:
	s_or_b64 s[2:3], s[2:3], exec
.LBB12_31:
	s_or_b64 exec, exec, s[0:1]
.LBB12_32:
	s_and_saveexec_b64 s[0:1], s[2:3]
	s_cbranch_execz .LBB12_34
; %bb.33:
	v_lshlrev_b64 v[2:3], 3, v[2:3]
	v_mov_b32_e32 v4, s34
	v_add_co_u32_e32 v2, vcc, s33, v2
	v_addc_co_u32_e32 v3, vcc, v4, v3, vcc
	flat_store_dwordx2 v[2:3], v[0:1]
.LBB12_34:
	s_endpgm
	.section	.rodata,"a",@progbits
	.p2align	6, 0x0
	.amdhsa_kernel _ZL19rocblas_sbmv_kernelILb1ELi64ELi16EPKdPKS1_PKPdEviiT2_lT3_lllS8_lllS7_lT4_llli
		.amdhsa_group_segment_fixed_size 8192
		.amdhsa_private_segment_fixed_size 0
		.amdhsa_kernarg_size 400
		.amdhsa_user_sgpr_count 6
		.amdhsa_user_sgpr_private_segment_buffer 1
		.amdhsa_user_sgpr_dispatch_ptr 0
		.amdhsa_user_sgpr_queue_ptr 0
		.amdhsa_user_sgpr_kernarg_segment_ptr 1
		.amdhsa_user_sgpr_dispatch_id 0
		.amdhsa_user_sgpr_flat_scratch_init 0
		.amdhsa_user_sgpr_private_segment_size 0
		.amdhsa_uses_dynamic_stack 0
		.amdhsa_system_sgpr_private_segment_wavefront_offset 0
		.amdhsa_system_sgpr_workgroup_id_x 1
		.amdhsa_system_sgpr_workgroup_id_y 0
		.amdhsa_system_sgpr_workgroup_id_z 1
		.amdhsa_system_sgpr_workgroup_info 0
		.amdhsa_system_vgpr_workitem_id 1
		.amdhsa_next_free_vgpr 29
		.amdhsa_next_free_sgpr 61
		.amdhsa_reserve_vcc 1
		.amdhsa_reserve_flat_scratch 0
		.amdhsa_float_round_mode_32 0
		.amdhsa_float_round_mode_16_64 0
		.amdhsa_float_denorm_mode_32 3
		.amdhsa_float_denorm_mode_16_64 3
		.amdhsa_dx10_clamp 1
		.amdhsa_ieee_mode 1
		.amdhsa_fp16_overflow 0
		.amdhsa_exception_fp_ieee_invalid_op 0
		.amdhsa_exception_fp_denorm_src 0
		.amdhsa_exception_fp_ieee_div_zero 0
		.amdhsa_exception_fp_ieee_overflow 0
		.amdhsa_exception_fp_ieee_underflow 0
		.amdhsa_exception_fp_ieee_inexact 0
		.amdhsa_exception_int_div_zero 0
	.end_amdhsa_kernel
	.section	.text._ZL19rocblas_sbmv_kernelILb1ELi64ELi16EPKdPKS1_PKPdEviiT2_lT3_lllS8_lllS7_lT4_llli,"axG",@progbits,_ZL19rocblas_sbmv_kernelILb1ELi64ELi16EPKdPKS1_PKPdEviiT2_lT3_lllS8_lllS7_lT4_llli,comdat
.Lfunc_end12:
	.size	_ZL19rocblas_sbmv_kernelILb1ELi64ELi16EPKdPKS1_PKPdEviiT2_lT3_lllS8_lllS7_lT4_llli, .Lfunc_end12-_ZL19rocblas_sbmv_kernelILb1ELi64ELi16EPKdPKS1_PKPdEviiT2_lT3_lllS8_lllS7_lT4_llli
                                        ; -- End function
	.set _ZL19rocblas_sbmv_kernelILb1ELi64ELi16EPKdPKS1_PKPdEviiT2_lT3_lllS8_lllS7_lT4_llli.num_vgpr, 21
	.set _ZL19rocblas_sbmv_kernelILb1ELi64ELi16EPKdPKS1_PKPdEviiT2_lT3_lllS8_lllS7_lT4_llli.num_agpr, 0
	.set _ZL19rocblas_sbmv_kernelILb1ELi64ELi16EPKdPKS1_PKPdEviiT2_lT3_lllS8_lllS7_lT4_llli.numbered_sgpr, 36
	.set _ZL19rocblas_sbmv_kernelILb1ELi64ELi16EPKdPKS1_PKPdEviiT2_lT3_lllS8_lllS7_lT4_llli.num_named_barrier, 0
	.set _ZL19rocblas_sbmv_kernelILb1ELi64ELi16EPKdPKS1_PKPdEviiT2_lT3_lllS8_lllS7_lT4_llli.private_seg_size, 0
	.set _ZL19rocblas_sbmv_kernelILb1ELi64ELi16EPKdPKS1_PKPdEviiT2_lT3_lllS8_lllS7_lT4_llli.uses_vcc, 1
	.set _ZL19rocblas_sbmv_kernelILb1ELi64ELi16EPKdPKS1_PKPdEviiT2_lT3_lllS8_lllS7_lT4_llli.uses_flat_scratch, 0
	.set _ZL19rocblas_sbmv_kernelILb1ELi64ELi16EPKdPKS1_PKPdEviiT2_lT3_lllS8_lllS7_lT4_llli.has_dyn_sized_stack, 0
	.set _ZL19rocblas_sbmv_kernelILb1ELi64ELi16EPKdPKS1_PKPdEviiT2_lT3_lllS8_lllS7_lT4_llli.has_recursion, 0
	.set _ZL19rocblas_sbmv_kernelILb1ELi64ELi16EPKdPKS1_PKPdEviiT2_lT3_lllS8_lllS7_lT4_llli.has_indirect_call, 0
	.section	.AMDGPU.csdata,"",@progbits
; Kernel info:
; codeLenInByte = 1532
; TotalNumSgprs: 40
; NumVgprs: 21
; ScratchSize: 0
; MemoryBound: 1
; FloatMode: 240
; IeeeMode: 1
; LDSByteSize: 8192 bytes/workgroup (compile time only)
; SGPRBlocks: 8
; VGPRBlocks: 7
; NumSGPRsForWavesPerEU: 65
; NumVGPRsForWavesPerEU: 29
; Occupancy: 8
; WaveLimiterHint : 1
; COMPUTE_PGM_RSRC2:SCRATCH_EN: 0
; COMPUTE_PGM_RSRC2:USER_SGPR: 6
; COMPUTE_PGM_RSRC2:TRAP_HANDLER: 0
; COMPUTE_PGM_RSRC2:TGID_X_EN: 1
; COMPUTE_PGM_RSRC2:TGID_Y_EN: 0
; COMPUTE_PGM_RSRC2:TGID_Z_EN: 1
; COMPUTE_PGM_RSRC2:TIDIG_COMP_CNT: 1
	.section	.text._ZL19rocblas_sbmv_kernelILb0ELi64ELi16EPKdPKS1_PKPdEviiT2_lT3_lllS8_lllS7_lT4_llli,"axG",@progbits,_ZL19rocblas_sbmv_kernelILb0ELi64ELi16EPKdPKS1_PKPdEviiT2_lT3_lllS8_lllS7_lT4_llli,comdat
	.globl	_ZL19rocblas_sbmv_kernelILb0ELi64ELi16EPKdPKS1_PKPdEviiT2_lT3_lllS8_lllS7_lT4_llli ; -- Begin function _ZL19rocblas_sbmv_kernelILb0ELi64ELi16EPKdPKS1_PKPdEviiT2_lT3_lllS8_lllS7_lT4_llli
	.p2align	8
	.type	_ZL19rocblas_sbmv_kernelILb0ELi64ELi16EPKdPKS1_PKPdEviiT2_lT3_lllS8_lllS7_lT4_llli,@function
_ZL19rocblas_sbmv_kernelILb0ELi64ELi16EPKdPKS1_PKPdEviiT2_lT3_lllS8_lllS7_lT4_llli: ; @_ZL19rocblas_sbmv_kernelILb0ELi64ELi16EPKdPKS1_PKPdEviiT2_lT3_lllS8_lllS7_lT4_llli
; %bb.0:
	s_load_dwordx2 s[0:1], s[4:5], 0x9c
	s_mov_b32 s28, s7
	s_waitcnt lgkmcnt(0)
	s_lshr_b32 s2, s0, 16
	s_and_b32 s7, s0, 0xffff
	s_and_b32 s1, s1, 0xffff
	s_mul_i32 s0, s2, s7
	s_mul_i32 s0, s0, s1
	s_cmpk_lg_i32 s0, 0x400
	s_cbranch_scc1 .LBB13_34
; %bb.1:
	s_load_dwordx8 s[16:23], s[4:5], 0x8
	s_load_dwordx8 s[8:15], s[4:5], 0x58
	s_waitcnt lgkmcnt(0)
	s_mul_i32 s1, s19, s28
	s_mul_hi_u32 s2, s18, s28
	s_mul_i32 s0, s18, s28
	s_add_i32 s1, s2, s1
	s_lshl_b64 s[0:1], s[0:1], 3
	s_add_u32 s0, s16, s0
	s_addc_u32 s1, s17, s1
	s_mul_i32 s3, s11, s28
	s_load_dwordx2 s[16:17], s[0:1], 0x0
	s_mul_hi_u32 s0, s10, s28
	s_add_i32 s1, s0, s3
	s_mul_i32 s0, s10, s28
	s_lshl_b64 s[0:1], s[0:1], 3
	s_add_u32 s0, s8, s0
	s_addc_u32 s1, s9, s1
	s_load_dwordx2 s[8:9], s[0:1], 0x0
	s_waitcnt lgkmcnt(0)
	v_cmp_eq_f64_e64 s[30:31], s[16:17], 0
	v_cmp_eq_f64_e64 s[0:1], s[8:9], 1.0
	s_and_b64 s[0:1], s[30:31], s[0:1]
	s_and_b64 vcc, exec, s[0:1]
	s_cbranch_vccnz .LBB13_34
; %bb.2:
	v_cmp_neq_f64_e64 s[34:35], s[16:17], 0
	s_load_dwordx2 s[24:25], s[4:5], 0x28
	s_load_dwordx2 s[10:11], s[4:5], 0x78
	s_mov_b32 s29, 0
	s_mov_b64 s[18:19], 0
	s_and_b64 vcc, exec, s[30:31]
	s_mov_b64 s[26:27], 0
	s_cbranch_vccnz .LBB13_4
; %bb.3:
	s_lshl_b64 s[0:1], s[28:29], 3
	s_add_u32 s0, s20, s0
	s_addc_u32 s1, s21, s1
	s_load_dwordx2 s[0:1], s[0:1], 0x0
	s_lshl_b64 s[2:3], s[22:23], 3
	s_waitcnt lgkmcnt(0)
	s_add_u32 s26, s0, s2
	s_addc_u32 s27, s1, s3
.LBB13_4:
	s_load_dwordx4 s[0:3], s[4:5], 0x38
	s_load_dwordx2 s[20:21], s[4:5], 0x48
	s_andn2_b64 vcc, exec, s[34:35]
	s_cbranch_vccnz .LBB13_6
; %bb.5:
	s_lshl_b64 s[18:19], s[28:29], 3
	s_waitcnt lgkmcnt(0)
	s_add_u32 s0, s0, s18
	s_addc_u32 s1, s1, s19
	s_load_dwordx2 s[0:1], s[0:1], 0x0
	s_lshl_b64 s[2:3], s[2:3], 3
	s_waitcnt lgkmcnt(0)
	s_add_u32 s18, s0, s2
	s_addc_u32 s19, s1, s3
.LBB13_6:
	s_waitcnt lgkmcnt(0)
	s_lshl_b64 s[0:1], s[28:29], 3
	s_add_u32 s0, s12, s0
	s_addc_u32 s1, s13, s1
	s_load_dwordx2 s[2:3], s[0:1], 0x0
	s_load_dwordx2 s[12:13], s[4:5], 0x0
	s_lshl_b64 s[0:1], s[14:15], 3
	v_mad_u32_u24 v12, v1, s7, v0
	s_waitcnt lgkmcnt(0)
	s_add_u32 s33, s2, s0
	s_addc_u32 s34, s3, s1
	s_andn2_b64 vcc, exec, s[30:31]
	v_cmp_gt_u32_e64 s[0:1], 64, v12
	s_cbranch_vccnz .LBB13_11
; %bb.7:
	v_lshl_add_u32 v4, s6, 6, v12
	v_cmp_gt_i32_e32 vcc, s12, v4
	s_and_b64 s[14:15], s[0:1], vcc
	s_mov_b64 s[0:1], 0
	s_mov_b64 s[2:3], 0
                                        ; implicit-def: $vgpr0_vgpr1
                                        ; implicit-def: $vgpr2_vgpr3
	s_and_saveexec_b64 s[4:5], s[14:15]
	s_cbranch_execz .LBB13_12
; %bb.8:
	v_cmp_eq_f64_e64 s[2:3], s[8:9], 0
	v_ashrrev_i32_e32 v0, 31, v4
	v_mul_lo_u32 v5, s11, v4
	v_mul_lo_u32 v6, s10, v0
	v_mad_u64_u32 v[2:3], s[14:15], s10, v4, 0
	v_mov_b32_e32 v0, 0
	v_mov_b32_e32 v1, 0
	v_add3_u32 v3, v3, v6, v5
	s_and_b64 vcc, exec, s[2:3]
	s_cbranch_vccnz .LBB13_10
; %bb.9:
	v_lshlrev_b64 v[0:1], 3, v[2:3]
	v_mov_b32_e32 v4, s34
	v_add_co_u32_e32 v0, vcc, s33, v0
	v_addc_co_u32_e32 v1, vcc, v4, v1, vcc
	flat_load_dwordx2 v[0:1], v[0:1]
	s_waitcnt vmcnt(0) lgkmcnt(0)
	v_mul_f64 v[0:1], s[8:9], v[0:1]
.LBB13_10:
	s_mov_b64 s[2:3], exec
	s_or_b64 exec, exec, s[4:5]
	s_and_b64 vcc, exec, s[0:1]
	s_cbranch_vccnz .LBB13_13
	s_branch .LBB13_32
.LBB13_11:
	s_mov_b64 s[2:3], 0
                                        ; implicit-def: $vgpr0_vgpr1
                                        ; implicit-def: $vgpr2_vgpr3
	s_cbranch_execnz .LBB13_13
	s_branch .LBB13_32
.LBB13_12:
	s_or_b64 exec, exec, s[4:5]
	s_and_b64 vcc, exec, s[0:1]
	s_cbranch_vccz .LBB13_32
.LBB13_13:
	v_lshrrev_b32_e32 v0, 6, v12
	v_mov_b32_e32 v2, 0
	s_lshl_b32 s30, s6, 6
	v_mov_b32_e32 v3, 0
	v_cmp_gt_i32_e32 vcc, s12, v0
	s_and_saveexec_b64 s[4:5], vcc
	s_cbranch_execz .LBB13_27
; %bb.14:
	v_and_b32_e32 v3, 63, v12
	v_or_b32_e32 v13, s30, v3
	v_mul_lo_u32 v4, s25, v13
	v_mad_u64_u32 v[1:2], s[0:1], s24, v13, 0
	s_ashr_i32 s0, s30, 31
	s_mul_i32 s0, s24, s0
	v_add_u32_e32 v3, s30, v3
	v_add3_u32 v2, v2, s0, v4
	v_ashrrev_i32_e32 v4, 31, v3
	s_lshl_b64 s[6:7], s[24:25], 3
	v_lshlrev_b64 v[4:5], 3, v[3:4]
	s_add_u32 s0, s6, -8
	v_lshlrev_b64 v[1:2], 3, v[1:2]
	v_mad_u64_u32 v[4:5], s[0:1], v0, s0, v[4:5]
	v_mov_b32_e32 v7, s27
	v_add_co_u32_e64 v14, s[0:1], s26, v1
	v_addc_co_u32_e64 v15, s[0:1], v7, v2, s[0:1]
	s_addc_u32 s0, s7, -1
	v_mov_b32_e32 v2, v5
	v_mad_u64_u32 v[5:6], s[0:1], v0, s0, v[2:3]
	v_add_co_u32_e64 v4, s[0:1], s26, v4
	v_addc_co_u32_e64 v5, s[0:1], v7, v5, s[0:1]
	s_lshl_b64 s[0:1], s[24:25], 7
	v_mov_b32_e32 v1, 0
	s_add_u32 s31, s0, 0xffffff80
	s_addc_u32 s0, s1, -1
	v_sub_u32_e32 v16, 0, v3
	v_sub_u32_e32 v17, v3, v0
	v_mov_b32_e32 v2, 0
	v_mov_b32_e32 v7, v1
	v_cmp_gt_i32_e32 vcc, s12, v13
	v_mov_b32_e32 v3, 0
	s_mov_b64 s[6:7], 0
	v_mov_b32_e32 v18, s0
	v_mov_b32_e32 v6, v0
	s_branch .LBB13_17
.LBB13_15:                              ;   in Loop: Header=BB13_17 Depth=1
	s_or_b64 exec, exec, s[24:25]
.LBB13_16:                              ;   in Loop: Header=BB13_17 Depth=1
	s_or_b64 exec, exec, s[14:15]
	v_add_co_u32_e64 v6, s[0:1], 16, v6
	v_addc_co_u32_e64 v7, s[0:1], 0, v7, s[0:1]
	v_add_co_u32_e64 v4, s[0:1], s31, v4
	v_addc_co_u32_e64 v5, s[0:1], v5, v18, s[0:1]
	v_cmp_le_i32_e64 s[0:1], s12, v6
	v_add_u32_e32 v0, 16, v0
	s_or_b64 s[6:7], s[0:1], s[6:7]
	v_add_u32_e32 v17, -16, v17
	s_andn2_b64 exec, exec, s[6:7]
	s_cbranch_execz .LBB13_26
.LBB13_17:                              ; =>This Inner Loop Header: Depth=1
	s_and_saveexec_b64 s[14:15], vcc
	s_cbranch_execz .LBB13_16
; %bb.18:                               ;   in Loop: Header=BB13_17 Depth=1
	v_cmp_ge_i32_e64 s[0:1], v13, v6
	s_mov_b64 s[22:23], 0
	s_and_saveexec_b64 s[24:25], s[0:1]
	s_xor_b64 s[24:25], exec, s[24:25]
; %bb.19:                               ;   in Loop: Header=BB13_17 Depth=1
	v_cmp_ge_i32_e64 s[0:1], s13, v17
	s_and_b64 s[22:23], s[0:1], exec
; %bb.20:                               ;   in Loop: Header=BB13_17 Depth=1
	s_or_saveexec_b64 s[24:25], s[24:25]
	v_mov_b32_e32 v9, v5
	v_mov_b32_e32 v11, v7
	;; [unrolled: 1-line block ×4, first 2 shown]
	s_xor_b64 exec, exec, s[24:25]
	s_cbranch_execz .LBB13_24
; %bb.21:                               ;   in Loop: Header=BB13_17 Depth=1
	v_add_u32_e32 v8, v16, v6
	v_cmp_ge_i32_e64 s[0:1], s13, v8
	s_mov_b64 s[28:29], s[22:23]
                                        ; implicit-def: $vgpr8_vgpr9
                                        ; implicit-def: $vgpr10_vgpr11
	s_and_saveexec_b64 s[26:27], s[0:1]
; %bb.22:                               ;   in Loop: Header=BB13_17 Depth=1
	v_sub_u32_e32 v8, v0, v13
	v_ashrrev_i32_e32 v9, 31, v8
	v_lshlrev_b64 v[8:9], 3, v[8:9]
	v_mov_b32_e32 v11, v1
	v_add_co_u32_e64 v8, s[0:1], v14, v8
	v_addc_co_u32_e64 v9, s[0:1], v15, v9, s[0:1]
	s_or_b64 s[28:29], s[22:23], exec
	v_mov_b32_e32 v10, v0
; %bb.23:                               ;   in Loop: Header=BB13_17 Depth=1
	s_or_b64 exec, exec, s[26:27]
	s_andn2_b64 s[0:1], s[22:23], exec
	s_and_b64 s[22:23], s[28:29], exec
	s_or_b64 s[22:23], s[0:1], s[22:23]
.LBB13_24:                              ;   in Loop: Header=BB13_17 Depth=1
	s_or_b64 exec, exec, s[24:25]
	s_and_saveexec_b64 s[24:25], s[22:23]
	s_cbranch_execz .LBB13_15
; %bb.25:                               ;   in Loop: Header=BB13_17 Depth=1
	v_mul_lo_u32 v19, v11, s20
	v_mul_lo_u32 v20, v10, s21
	v_mad_u64_u32 v[10:11], s[0:1], v10, s20, 0
	flat_load_dwordx2 v[8:9], v[8:9]
	v_add3_u32 v11, v11, v20, v19
	v_lshlrev_b64 v[10:11], 3, v[10:11]
	v_mov_b32_e32 v19, s19
	v_add_co_u32_e64 v10, s[0:1], s18, v10
	v_addc_co_u32_e64 v11, s[0:1], v19, v11, s[0:1]
	flat_load_dwordx2 v[10:11], v[10:11]
	s_waitcnt vmcnt(0) lgkmcnt(0)
	v_fma_f64 v[2:3], v[8:9], v[10:11], v[2:3]
	s_branch .LBB13_15
.LBB13_26:
	s_or_b64 exec, exec, s[6:7]
.LBB13_27:
	s_or_b64 exec, exec, s[4:5]
	v_add_u32_e32 v5, s30, v12
	v_cmp_gt_u32_e32 vcc, 64, v12
	v_cmp_gt_i32_e64 s[0:1], s12, v5
	v_lshlrev_b32_e32 v4, 3, v12
	s_and_b64 s[4:5], vcc, s[0:1]
	ds_write_b64 v4, v[2:3]
	s_waitcnt lgkmcnt(0)
	s_barrier
                                        ; implicit-def: $vgpr0_vgpr1
                                        ; implicit-def: $vgpr2_vgpr3
	s_and_saveexec_b64 s[0:1], s[4:5]
	s_cbranch_execz .LBB13_31
; %bb.28:
	ds_read2st64_b64 v[0:3], v4 offset1:1
	ds_read2st64_b64 v[6:9], v4 offset0:2 offset1:3
	v_cmp_eq_f64_e64 s[4:5], s[8:9], 0
	s_waitcnt lgkmcnt(1)
	v_add_f64 v[0:1], v[0:1], v[2:3]
	s_and_b64 vcc, exec, s[4:5]
	s_waitcnt lgkmcnt(0)
	v_add_f64 v[0:1], v[6:7], v[0:1]
	v_add_f64 v[10:11], v[8:9], v[0:1]
	ds_read2st64_b64 v[0:3], v4 offset0:4 offset1:5
	ds_read2st64_b64 v[6:9], v4 offset0:6 offset1:7
	s_waitcnt lgkmcnt(1)
	v_add_f64 v[0:1], v[0:1], v[10:11]
	v_add_f64 v[0:1], v[2:3], v[0:1]
	s_waitcnt lgkmcnt(0)
	v_add_f64 v[0:1], v[6:7], v[0:1]
	v_add_f64 v[10:11], v[8:9], v[0:1]
	ds_read2st64_b64 v[0:3], v4 offset0:8 offset1:9
	ds_read2st64_b64 v[6:9], v4 offset0:10 offset1:11
	s_waitcnt lgkmcnt(1)
	v_add_f64 v[0:1], v[0:1], v[10:11]
	v_add_f64 v[0:1], v[2:3], v[0:1]
	;; [unrolled: 8-line block ×3, first 2 shown]
	v_mad_u64_u32 v[2:3], s[6:7], s10, v5, 0
	s_waitcnt lgkmcnt(0)
	v_add_f64 v[0:1], v[6:7], v[0:1]
	v_add_f64 v[6:7], v[8:9], v[0:1]
	v_ashrrev_i32_e32 v0, 31, v5
	v_mul_lo_u32 v9, s10, v0
	v_mul_lo_u32 v8, s11, v5
	v_add3_u32 v3, v3, v9, v8
	v_mul_f64 v[0:1], s[16:17], v[6:7]
	ds_write_b64 v4, v[6:7]
	s_cbranch_vccnz .LBB13_30
; %bb.29:
	v_lshlrev_b64 v[4:5], 3, v[2:3]
	v_mov_b32_e32 v6, s34
	v_add_co_u32_e32 v4, vcc, s33, v4
	v_addc_co_u32_e32 v5, vcc, v6, v5, vcc
	flat_load_dwordx2 v[4:5], v[4:5]
	s_waitcnt vmcnt(0) lgkmcnt(0)
	v_fma_f64 v[0:1], s[8:9], v[4:5], v[0:1]
.LBB13_30:
	s_or_b64 s[2:3], s[2:3], exec
.LBB13_31:
	s_or_b64 exec, exec, s[0:1]
.LBB13_32:
	s_and_saveexec_b64 s[0:1], s[2:3]
	s_cbranch_execz .LBB13_34
; %bb.33:
	v_lshlrev_b64 v[2:3], 3, v[2:3]
	v_mov_b32_e32 v4, s34
	v_add_co_u32_e32 v2, vcc, s33, v2
	v_addc_co_u32_e32 v3, vcc, v4, v3, vcc
	flat_store_dwordx2 v[2:3], v[0:1]
.LBB13_34:
	s_endpgm
	.section	.rodata,"a",@progbits
	.p2align	6, 0x0
	.amdhsa_kernel _ZL19rocblas_sbmv_kernelILb0ELi64ELi16EPKdPKS1_PKPdEviiT2_lT3_lllS8_lllS7_lT4_llli
		.amdhsa_group_segment_fixed_size 8192
		.amdhsa_private_segment_fixed_size 0
		.amdhsa_kernarg_size 400
		.amdhsa_user_sgpr_count 6
		.amdhsa_user_sgpr_private_segment_buffer 1
		.amdhsa_user_sgpr_dispatch_ptr 0
		.amdhsa_user_sgpr_queue_ptr 0
		.amdhsa_user_sgpr_kernarg_segment_ptr 1
		.amdhsa_user_sgpr_dispatch_id 0
		.amdhsa_user_sgpr_flat_scratch_init 0
		.amdhsa_user_sgpr_private_segment_size 0
		.amdhsa_uses_dynamic_stack 0
		.amdhsa_system_sgpr_private_segment_wavefront_offset 0
		.amdhsa_system_sgpr_workgroup_id_x 1
		.amdhsa_system_sgpr_workgroup_id_y 0
		.amdhsa_system_sgpr_workgroup_id_z 1
		.amdhsa_system_sgpr_workgroup_info 0
		.amdhsa_system_vgpr_workitem_id 1
		.amdhsa_next_free_vgpr 29
		.amdhsa_next_free_sgpr 61
		.amdhsa_reserve_vcc 1
		.amdhsa_reserve_flat_scratch 0
		.amdhsa_float_round_mode_32 0
		.amdhsa_float_round_mode_16_64 0
		.amdhsa_float_denorm_mode_32 3
		.amdhsa_float_denorm_mode_16_64 3
		.amdhsa_dx10_clamp 1
		.amdhsa_ieee_mode 1
		.amdhsa_fp16_overflow 0
		.amdhsa_exception_fp_ieee_invalid_op 0
		.amdhsa_exception_fp_denorm_src 0
		.amdhsa_exception_fp_ieee_div_zero 0
		.amdhsa_exception_fp_ieee_overflow 0
		.amdhsa_exception_fp_ieee_underflow 0
		.amdhsa_exception_fp_ieee_inexact 0
		.amdhsa_exception_int_div_zero 0
	.end_amdhsa_kernel
	.section	.text._ZL19rocblas_sbmv_kernelILb0ELi64ELi16EPKdPKS1_PKPdEviiT2_lT3_lllS8_lllS7_lT4_llli,"axG",@progbits,_ZL19rocblas_sbmv_kernelILb0ELi64ELi16EPKdPKS1_PKPdEviiT2_lT3_lllS8_lllS7_lT4_llli,comdat
.Lfunc_end13:
	.size	_ZL19rocblas_sbmv_kernelILb0ELi64ELi16EPKdPKS1_PKPdEviiT2_lT3_lllS8_lllS7_lT4_llli, .Lfunc_end13-_ZL19rocblas_sbmv_kernelILb0ELi64ELi16EPKdPKS1_PKPdEviiT2_lT3_lllS8_lllS7_lT4_llli
                                        ; -- End function
	.set _ZL19rocblas_sbmv_kernelILb0ELi64ELi16EPKdPKS1_PKPdEviiT2_lT3_lllS8_lllS7_lT4_llli.num_vgpr, 21
	.set _ZL19rocblas_sbmv_kernelILb0ELi64ELi16EPKdPKS1_PKPdEviiT2_lT3_lllS8_lllS7_lT4_llli.num_agpr, 0
	.set _ZL19rocblas_sbmv_kernelILb0ELi64ELi16EPKdPKS1_PKPdEviiT2_lT3_lllS8_lllS7_lT4_llli.numbered_sgpr, 36
	.set _ZL19rocblas_sbmv_kernelILb0ELi64ELi16EPKdPKS1_PKPdEviiT2_lT3_lllS8_lllS7_lT4_llli.num_named_barrier, 0
	.set _ZL19rocblas_sbmv_kernelILb0ELi64ELi16EPKdPKS1_PKPdEviiT2_lT3_lllS8_lllS7_lT4_llli.private_seg_size, 0
	.set _ZL19rocblas_sbmv_kernelILb0ELi64ELi16EPKdPKS1_PKPdEviiT2_lT3_lllS8_lllS7_lT4_llli.uses_vcc, 1
	.set _ZL19rocblas_sbmv_kernelILb0ELi64ELi16EPKdPKS1_PKPdEviiT2_lT3_lllS8_lllS7_lT4_llli.uses_flat_scratch, 0
	.set _ZL19rocblas_sbmv_kernelILb0ELi64ELi16EPKdPKS1_PKPdEviiT2_lT3_lllS8_lllS7_lT4_llli.has_dyn_sized_stack, 0
	.set _ZL19rocblas_sbmv_kernelILb0ELi64ELi16EPKdPKS1_PKPdEviiT2_lT3_lllS8_lllS7_lT4_llli.has_recursion, 0
	.set _ZL19rocblas_sbmv_kernelILb0ELi64ELi16EPKdPKS1_PKPdEviiT2_lT3_lllS8_lllS7_lT4_llli.has_indirect_call, 0
	.section	.AMDGPU.csdata,"",@progbits
; Kernel info:
; codeLenInByte = 1536
; TotalNumSgprs: 40
; NumVgprs: 21
; ScratchSize: 0
; MemoryBound: 1
; FloatMode: 240
; IeeeMode: 1
; LDSByteSize: 8192 bytes/workgroup (compile time only)
; SGPRBlocks: 8
; VGPRBlocks: 7
; NumSGPRsForWavesPerEU: 65
; NumVGPRsForWavesPerEU: 29
; Occupancy: 8
; WaveLimiterHint : 1
; COMPUTE_PGM_RSRC2:SCRATCH_EN: 0
; COMPUTE_PGM_RSRC2:USER_SGPR: 6
; COMPUTE_PGM_RSRC2:TRAP_HANDLER: 0
; COMPUTE_PGM_RSRC2:TGID_X_EN: 1
; COMPUTE_PGM_RSRC2:TGID_Y_EN: 0
; COMPUTE_PGM_RSRC2:TGID_Z_EN: 1
; COMPUTE_PGM_RSRC2:TIDIG_COMP_CNT: 1
	.section	.text._ZL19rocblas_sbmv_kernelILb1ELi64ELi16EdPKPKdPKPdEviiT2_lT3_lllS8_lllS7_lT4_llli,"axG",@progbits,_ZL19rocblas_sbmv_kernelILb1ELi64ELi16EdPKPKdPKPdEviiT2_lT3_lllS8_lllS7_lT4_llli,comdat
	.globl	_ZL19rocblas_sbmv_kernelILb1ELi64ELi16EdPKPKdPKPdEviiT2_lT3_lllS8_lllS7_lT4_llli ; -- Begin function _ZL19rocblas_sbmv_kernelILb1ELi64ELi16EdPKPKdPKPdEviiT2_lT3_lllS8_lllS7_lT4_llli
	.p2align	8
	.type	_ZL19rocblas_sbmv_kernelILb1ELi64ELi16EdPKPKdPKPdEviiT2_lT3_lllS8_lllS7_lT4_llli,@function
_ZL19rocblas_sbmv_kernelILb1ELi64ELi16EdPKPKdPKPdEviiT2_lT3_lllS8_lllS7_lT4_llli: ; @_ZL19rocblas_sbmv_kernelILb1ELi64ELi16EdPKPKdPKPdEviiT2_lT3_lllS8_lllS7_lT4_llli
; %bb.0:
	s_load_dwordx2 s[0:1], s[4:5], 0x9c
	s_mov_b32 s24, s7
	s_waitcnt lgkmcnt(0)
	s_lshr_b32 s2, s0, 16
	s_and_b32 s7, s0, 0xffff
	s_and_b32 s1, s1, 0xffff
	s_mul_i32 s0, s2, s7
	s_mul_i32 s0, s0, s1
	s_cmpk_lg_i32 s0, 0x400
	s_cbranch_scc1 .LBB14_36
; %bb.1:
	s_load_dwordx2 s[10:11], s[4:5], 0x8
	s_load_dwordx2 s[8:9], s[4:5], 0x58
	s_waitcnt lgkmcnt(0)
	v_cmp_eq_f64_e64 s[26:27], s[10:11], 0
	v_cmp_eq_f64_e64 s[0:1], s[8:9], 1.0
	s_and_b64 s[0:1], s[26:27], s[0:1]
	s_and_b64 vcc, exec, s[0:1]
	s_cbranch_vccnz .LBB14_36
; %bb.2:
	v_cmp_neq_f64_e64 s[16:17], s[10:11], 0
	s_load_dwordx4 s[0:3], s[4:5], 0x18
	s_load_dwordx2 s[20:21], s[4:5], 0x28
	s_mov_b64 s[22:23], 0
	s_mov_b32 s25, 0
	s_and_b64 vcc, exec, s[16:17]
	s_cbranch_vccnz .LBB14_4
; %bb.3:
	s_cbranch_execz .LBB14_5
	s_branch .LBB14_6
.LBB14_4:
.LBB14_5:
	s_lshl_b64 s[12:13], s[24:25], 3
	s_waitcnt lgkmcnt(0)
	s_add_u32 s0, s0, s12
	s_addc_u32 s1, s1, s13
	s_load_dwordx2 s[0:1], s[0:1], 0x0
	s_lshl_b64 s[2:3], s[2:3], 3
	s_waitcnt lgkmcnt(0)
	s_add_u32 s22, s0, s2
	s_addc_u32 s23, s1, s3
.LBB14_6:
	s_waitcnt lgkmcnt(0)
	s_load_dwordx4 s[0:3], s[4:5], 0x38
	s_load_dwordx2 s[14:15], s[4:5], 0x48
	s_mov_b64 s[12:13], 0
	s_andn2_b64 vcc, exec, s[16:17]
	s_mov_b64 s[18:19], 0
	s_cbranch_vccnz .LBB14_8
; %bb.7:
	s_lshl_b64 s[16:17], s[24:25], 3
	s_waitcnt lgkmcnt(0)
	s_add_u32 s0, s0, s16
	s_addc_u32 s1, s1, s17
	s_load_dwordx2 s[0:1], s[0:1], 0x0
	s_lshl_b64 s[2:3], s[2:3], 3
	s_waitcnt lgkmcnt(0)
	s_add_u32 s18, s0, s2
	s_addc_u32 s19, s1, s3
.LBB14_8:
	s_load_dwordx4 s[28:31], s[4:5], 0x68
	s_load_dwordx2 s[16:17], s[4:5], 0x0
	s_waitcnt lgkmcnt(0)
	s_load_dwordx2 s[2:3], s[4:5], 0x78
	s_lshl_b64 s[0:1], s[24:25], 3
	v_mad_u32_u24 v14, v1, s7, v0
	s_add_u32 s0, s28, s0
	s_addc_u32 s1, s29, s1
	s_load_dwordx2 s[0:1], s[0:1], 0x0
	s_lshl_b64 s[4:5], s[30:31], 3
	s_waitcnt lgkmcnt(0)
	s_add_u32 s33, s0, s4
	s_addc_u32 s34, s1, s5
	s_andn2_b64 vcc, exec, s[26:27]
	v_cmp_gt_u32_e64 s[0:1], 64, v14
	s_cbranch_vccnz .LBB14_13
; %bb.9:
	v_lshl_add_u32 v4, s6, 6, v14
	v_cmp_gt_i32_e32 vcc, s16, v4
	s_and_b64 s[24:25], s[0:1], vcc
	s_mov_b64 s[0:1], 0
                                        ; implicit-def: $vgpr0_vgpr1
                                        ; implicit-def: $vgpr2_vgpr3
	s_and_saveexec_b64 s[4:5], s[24:25]
	s_cbranch_execz .LBB14_14
; %bb.10:
	v_cmp_eq_f64_e64 s[12:13], s[8:9], 0
	v_ashrrev_i32_e32 v0, 31, v4
	v_mul_lo_u32 v5, s3, v4
	v_mul_lo_u32 v6, s2, v0
	v_mad_u64_u32 v[2:3], s[24:25], s2, v4, 0
	v_mov_b32_e32 v0, 0
	v_mov_b32_e32 v1, 0
	v_add3_u32 v3, v3, v6, v5
	s_and_b64 vcc, exec, s[12:13]
	s_cbranch_vccnz .LBB14_12
; %bb.11:
	v_lshlrev_b64 v[0:1], 3, v[2:3]
	v_mov_b32_e32 v4, s34
	v_add_co_u32_e32 v0, vcc, s33, v0
	v_addc_co_u32_e32 v1, vcc, v4, v1, vcc
	flat_load_dwordx2 v[0:1], v[0:1]
	s_waitcnt vmcnt(0) lgkmcnt(0)
	v_mul_f64 v[0:1], s[8:9], v[0:1]
.LBB14_12:
	s_mov_b64 s[12:13], exec
	s_or_b64 exec, exec, s[4:5]
	s_and_b64 vcc, exec, s[0:1]
	s_cbranch_vccnz .LBB14_15
	s_branch .LBB14_34
.LBB14_13:
                                        ; implicit-def: $vgpr0_vgpr1
                                        ; implicit-def: $vgpr2_vgpr3
	s_cbranch_execnz .LBB14_15
	s_branch .LBB14_34
.LBB14_14:
	s_or_b64 exec, exec, s[4:5]
	s_and_b64 vcc, exec, s[0:1]
	s_cbranch_vccz .LBB14_34
.LBB14_15:
	v_lshrrev_b32_e32 v0, 6, v14
	v_mov_b32_e32 v2, 0
	s_lshl_b32 s35, s6, 6
	v_mov_b32_e32 v3, 0
	v_cmp_gt_i32_e32 vcc, s16, v0
	s_and_saveexec_b64 s[4:5], vcc
	s_cbranch_execz .LBB14_29
; %bb.16:
	v_and_b32_e32 v6, 63, v14
	v_or_b32_e32 v15, s35, v6
	v_mul_lo_u32 v5, s21, v15
	v_mad_u64_u32 v[1:2], s[0:1], s20, v15, 0
	v_mad_u64_u32 v[3:4], s[0:1], s20, v0, 0
	s_ashr_i32 s6, s35, 31
	s_mul_i32 s6, s20, s6
	v_add3_u32 v2, v2, s6, v5
	v_mad_u64_u32 v[4:5], s[0:1], s21, v0, v[4:5]
	v_lshlrev_b64 v[1:2], 3, v[1:2]
	v_mov_b32_e32 v7, s23
	v_add_co_u32_e64 v16, s[0:1], s22, v1
	v_addc_co_u32_e64 v17, s[0:1], v7, v2, s[0:1]
	v_lshlrev_b64 v[2:3], 3, v[3:4]
	v_mov_b32_e32 v5, 0
	v_add_co_u32_e64 v18, s[0:1], s22, v2
	v_addc_co_u32_e64 v19, s[0:1], v7, v3, s[0:1]
	s_add_i32 s0, s17, s35
	v_add_u32_e32 v2, s0, v6
	v_mov_b32_e32 v1, v5
	v_sub_u32_e32 v4, v2, v0
	v_sub_u32_e32 v2, s17, v6
	v_subrev_u32_e32 v20, s35, v2
	v_mov_b32_e32 v2, 0
	v_mov_b32_e32 v7, v1
	v_cmp_gt_i32_e32 vcc, s16, v15
	s_lshl_b64 s[6:7], s[20:21], 7
	v_mov_b32_e32 v3, 0
	s_mov_b64 s[20:21], 0
	v_mov_b32_e32 v6, v0
	s_branch .LBB14_19
.LBB14_17:                              ;   in Loop: Header=BB14_19 Depth=1
	s_or_b64 exec, exec, s[26:27]
.LBB14_18:                              ;   in Loop: Header=BB14_19 Depth=1
	s_or_b64 exec, exec, s[22:23]
	v_add_co_u32_e64 v6, s[0:1], 16, v6
	v_addc_co_u32_e64 v7, s[0:1], 0, v7, s[0:1]
	v_mov_b32_e32 v1, s7
	v_add_co_u32_e64 v18, s[0:1], s6, v18
	v_addc_co_u32_e64 v19, s[0:1], v19, v1, s[0:1]
	v_cmp_le_i32_e64 s[0:1], s16, v6
	v_add_u32_e32 v0, 16, v0
	s_or_b64 s[20:21], s[0:1], s[20:21]
	v_add_u32_e32 v4, -16, v4
	s_andn2_b64 exec, exec, s[20:21]
	s_cbranch_execz .LBB14_28
.LBB14_19:                              ; =>This Inner Loop Header: Depth=1
	s_and_saveexec_b64 s[22:23], vcc
	s_cbranch_execz .LBB14_18
; %bb.20:                               ;   in Loop: Header=BB14_19 Depth=1
	v_cmp_le_i32_e64 s[0:1], v15, v6
	s_mov_b64 s[24:25], 0
                                        ; implicit-def: $vgpr8_vgpr9
	s_and_saveexec_b64 s[26:27], s[0:1]
	s_xor_b64 s[26:27], exec, s[26:27]
; %bb.21:                               ;   in Loop: Header=BB14_19 Depth=1
	v_lshlrev_b64 v[8:9], 3, v[4:5]
	v_add_co_u32_e64 v8, s[0:1], v18, v8
	v_addc_co_u32_e64 v9, s[0:1], v19, v9, s[0:1]
	v_cmp_lt_i32_e64 s[0:1], -1, v4
	s_and_b64 s[24:25], s[0:1], exec
; %bb.22:                               ;   in Loop: Header=BB14_19 Depth=1
	s_or_saveexec_b64 s[26:27], s[26:27]
	v_mov_b32_e32 v11, v7
	v_mov_b32_e32 v10, v6
	s_xor_b64 exec, exec, s[26:27]
	s_cbranch_execz .LBB14_26
; %bb.23:                               ;   in Loop: Header=BB14_19 Depth=1
	v_add_u32_e32 v12, v20, v6
	v_cmp_lt_i32_e64 s[0:1], -1, v12
	s_mov_b64 s[30:31], s[24:25]
                                        ; implicit-def: $vgpr8_vgpr9
                                        ; implicit-def: $vgpr10_vgpr11
	s_and_saveexec_b64 s[28:29], s[0:1]
; %bb.24:                               ;   in Loop: Header=BB14_19 Depth=1
	v_mov_b32_e32 v13, v5
	v_lshlrev_b64 v[8:9], 3, v[12:13]
	v_mov_b32_e32 v1, v5
	v_add_co_u32_e64 v8, s[0:1], v16, v8
	v_mov_b32_e32 v11, v1
	v_addc_co_u32_e64 v9, s[0:1], v17, v9, s[0:1]
	s_or_b64 s[30:31], s[24:25], exec
	v_mov_b32_e32 v10, v0
; %bb.25:                               ;   in Loop: Header=BB14_19 Depth=1
	s_or_b64 exec, exec, s[28:29]
	s_andn2_b64 s[0:1], s[24:25], exec
	s_and_b64 s[24:25], s[30:31], exec
	s_or_b64 s[24:25], s[0:1], s[24:25]
.LBB14_26:                              ;   in Loop: Header=BB14_19 Depth=1
	s_or_b64 exec, exec, s[26:27]
	s_and_saveexec_b64 s[26:27], s[24:25]
	s_cbranch_execz .LBB14_17
; %bb.27:                               ;   in Loop: Header=BB14_19 Depth=1
	v_mul_lo_u32 v1, v11, s14
	v_mul_lo_u32 v12, v10, s15
	v_mad_u64_u32 v[10:11], s[0:1], v10, s14, 0
	flat_load_dwordx2 v[8:9], v[8:9]
	v_add3_u32 v11, v11, v12, v1
	v_lshlrev_b64 v[10:11], 3, v[10:11]
	v_mov_b32_e32 v1, s19
	v_add_co_u32_e64 v10, s[0:1], s18, v10
	v_addc_co_u32_e64 v11, s[0:1], v1, v11, s[0:1]
	flat_load_dwordx2 v[10:11], v[10:11]
	s_waitcnt vmcnt(0) lgkmcnt(0)
	v_fma_f64 v[2:3], v[8:9], v[10:11], v[2:3]
	s_branch .LBB14_17
.LBB14_28:
	s_or_b64 exec, exec, s[20:21]
.LBB14_29:
	s_or_b64 exec, exec, s[4:5]
	v_add_u32_e32 v5, s35, v14
	v_cmp_gt_u32_e32 vcc, 64, v14
	v_cmp_gt_i32_e64 s[0:1], s16, v5
	v_lshlrev_b32_e32 v4, 3, v14
	s_and_b64 s[4:5], vcc, s[0:1]
	ds_write_b64 v4, v[2:3]
	s_waitcnt lgkmcnt(0)
	s_barrier
                                        ; implicit-def: $vgpr0_vgpr1
                                        ; implicit-def: $vgpr2_vgpr3
	s_and_saveexec_b64 s[0:1], s[4:5]
	s_cbranch_execz .LBB14_33
; %bb.30:
	ds_read2st64_b64 v[0:3], v4 offset1:1
	ds_read2st64_b64 v[6:9], v4 offset0:2 offset1:3
	v_cmp_eq_f64_e64 s[4:5], s[8:9], 0
	s_waitcnt lgkmcnt(1)
	v_add_f64 v[0:1], v[0:1], v[2:3]
	s_and_b64 vcc, exec, s[4:5]
	s_waitcnt lgkmcnt(0)
	v_add_f64 v[0:1], v[6:7], v[0:1]
	v_add_f64 v[10:11], v[8:9], v[0:1]
	ds_read2st64_b64 v[0:3], v4 offset0:4 offset1:5
	ds_read2st64_b64 v[6:9], v4 offset0:6 offset1:7
	s_waitcnt lgkmcnt(1)
	v_add_f64 v[0:1], v[0:1], v[10:11]
	v_add_f64 v[0:1], v[2:3], v[0:1]
	s_waitcnt lgkmcnt(0)
	v_add_f64 v[0:1], v[6:7], v[0:1]
	v_add_f64 v[10:11], v[8:9], v[0:1]
	ds_read2st64_b64 v[0:3], v4 offset0:8 offset1:9
	ds_read2st64_b64 v[6:9], v4 offset0:10 offset1:11
	s_waitcnt lgkmcnt(1)
	v_add_f64 v[0:1], v[0:1], v[10:11]
	v_add_f64 v[0:1], v[2:3], v[0:1]
	;; [unrolled: 8-line block ×3, first 2 shown]
	s_waitcnt lgkmcnt(0)
	v_add_f64 v[0:1], v[6:7], v[0:1]
	v_add_f64 v[6:7], v[8:9], v[0:1]
	v_ashrrev_i32_e32 v0, 31, v5
	v_mul_lo_u32 v9, s2, v0
	v_mul_lo_u32 v8, s3, v5
	v_mad_u64_u32 v[2:3], s[2:3], s2, v5, 0
	v_add3_u32 v3, v3, v9, v8
	v_mul_f64 v[0:1], s[10:11], v[6:7]
	ds_write_b64 v4, v[6:7]
	s_cbranch_vccnz .LBB14_32
; %bb.31:
	v_lshlrev_b64 v[4:5], 3, v[2:3]
	v_mov_b32_e32 v6, s34
	v_add_co_u32_e32 v4, vcc, s33, v4
	v_addc_co_u32_e32 v5, vcc, v6, v5, vcc
	flat_load_dwordx2 v[4:5], v[4:5]
	s_waitcnt vmcnt(0) lgkmcnt(0)
	v_fma_f64 v[0:1], s[8:9], v[4:5], v[0:1]
.LBB14_32:
	s_or_b64 s[12:13], s[12:13], exec
.LBB14_33:
	s_or_b64 exec, exec, s[0:1]
.LBB14_34:
	s_and_saveexec_b64 s[0:1], s[12:13]
	s_cbranch_execz .LBB14_36
; %bb.35:
	v_lshlrev_b64 v[2:3], 3, v[2:3]
	v_mov_b32_e32 v4, s34
	v_add_co_u32_e32 v2, vcc, s33, v2
	v_addc_co_u32_e32 v3, vcc, v4, v3, vcc
	flat_store_dwordx2 v[2:3], v[0:1]
.LBB14_36:
	s_endpgm
	.section	.rodata,"a",@progbits
	.p2align	6, 0x0
	.amdhsa_kernel _ZL19rocblas_sbmv_kernelILb1ELi64ELi16EdPKPKdPKPdEviiT2_lT3_lllS8_lllS7_lT4_llli
		.amdhsa_group_segment_fixed_size 8192
		.amdhsa_private_segment_fixed_size 0
		.amdhsa_kernarg_size 400
		.amdhsa_user_sgpr_count 6
		.amdhsa_user_sgpr_private_segment_buffer 1
		.amdhsa_user_sgpr_dispatch_ptr 0
		.amdhsa_user_sgpr_queue_ptr 0
		.amdhsa_user_sgpr_kernarg_segment_ptr 1
		.amdhsa_user_sgpr_dispatch_id 0
		.amdhsa_user_sgpr_flat_scratch_init 0
		.amdhsa_user_sgpr_private_segment_size 0
		.amdhsa_uses_dynamic_stack 0
		.amdhsa_system_sgpr_private_segment_wavefront_offset 0
		.amdhsa_system_sgpr_workgroup_id_x 1
		.amdhsa_system_sgpr_workgroup_id_y 0
		.amdhsa_system_sgpr_workgroup_id_z 1
		.amdhsa_system_sgpr_workgroup_info 0
		.amdhsa_system_vgpr_workitem_id 1
		.amdhsa_next_free_vgpr 29
		.amdhsa_next_free_sgpr 61
		.amdhsa_reserve_vcc 1
		.amdhsa_reserve_flat_scratch 0
		.amdhsa_float_round_mode_32 0
		.amdhsa_float_round_mode_16_64 0
		.amdhsa_float_denorm_mode_32 3
		.amdhsa_float_denorm_mode_16_64 3
		.amdhsa_dx10_clamp 1
		.amdhsa_ieee_mode 1
		.amdhsa_fp16_overflow 0
		.amdhsa_exception_fp_ieee_invalid_op 0
		.amdhsa_exception_fp_denorm_src 0
		.amdhsa_exception_fp_ieee_div_zero 0
		.amdhsa_exception_fp_ieee_overflow 0
		.amdhsa_exception_fp_ieee_underflow 0
		.amdhsa_exception_fp_ieee_inexact 0
		.amdhsa_exception_int_div_zero 0
	.end_amdhsa_kernel
	.section	.text._ZL19rocblas_sbmv_kernelILb1ELi64ELi16EdPKPKdPKPdEviiT2_lT3_lllS8_lllS7_lT4_llli,"axG",@progbits,_ZL19rocblas_sbmv_kernelILb1ELi64ELi16EdPKPKdPKPdEviiT2_lT3_lllS8_lllS7_lT4_llli,comdat
.Lfunc_end14:
	.size	_ZL19rocblas_sbmv_kernelILb1ELi64ELi16EdPKPKdPKPdEviiT2_lT3_lllS8_lllS7_lT4_llli, .Lfunc_end14-_ZL19rocblas_sbmv_kernelILb1ELi64ELi16EdPKPKdPKPdEviiT2_lT3_lllS8_lllS7_lT4_llli
                                        ; -- End function
	.set _ZL19rocblas_sbmv_kernelILb1ELi64ELi16EdPKPKdPKPdEviiT2_lT3_lllS8_lllS7_lT4_llli.num_vgpr, 21
	.set _ZL19rocblas_sbmv_kernelILb1ELi64ELi16EdPKPKdPKPdEviiT2_lT3_lllS8_lllS7_lT4_llli.num_agpr, 0
	.set _ZL19rocblas_sbmv_kernelILb1ELi64ELi16EdPKPKdPKPdEviiT2_lT3_lllS8_lllS7_lT4_llli.numbered_sgpr, 36
	.set _ZL19rocblas_sbmv_kernelILb1ELi64ELi16EdPKPKdPKPdEviiT2_lT3_lllS8_lllS7_lT4_llli.num_named_barrier, 0
	.set _ZL19rocblas_sbmv_kernelILb1ELi64ELi16EdPKPKdPKPdEviiT2_lT3_lllS8_lllS7_lT4_llli.private_seg_size, 0
	.set _ZL19rocblas_sbmv_kernelILb1ELi64ELi16EdPKPKdPKPdEviiT2_lT3_lllS8_lllS7_lT4_llli.uses_vcc, 1
	.set _ZL19rocblas_sbmv_kernelILb1ELi64ELi16EdPKPKdPKPdEviiT2_lT3_lllS8_lllS7_lT4_llli.uses_flat_scratch, 0
	.set _ZL19rocblas_sbmv_kernelILb1ELi64ELi16EdPKPKdPKPdEviiT2_lT3_lllS8_lllS7_lT4_llli.has_dyn_sized_stack, 0
	.set _ZL19rocblas_sbmv_kernelILb1ELi64ELi16EdPKPKdPKPdEviiT2_lT3_lllS8_lllS7_lT4_llli.has_recursion, 0
	.set _ZL19rocblas_sbmv_kernelILb1ELi64ELi16EdPKPKdPKPdEviiT2_lT3_lllS8_lllS7_lT4_llli.has_indirect_call, 0
	.section	.AMDGPU.csdata,"",@progbits
; Kernel info:
; codeLenInByte = 1484
; TotalNumSgprs: 40
; NumVgprs: 21
; ScratchSize: 0
; MemoryBound: 1
; FloatMode: 240
; IeeeMode: 1
; LDSByteSize: 8192 bytes/workgroup (compile time only)
; SGPRBlocks: 8
; VGPRBlocks: 7
; NumSGPRsForWavesPerEU: 65
; NumVGPRsForWavesPerEU: 29
; Occupancy: 8
; WaveLimiterHint : 1
; COMPUTE_PGM_RSRC2:SCRATCH_EN: 0
; COMPUTE_PGM_RSRC2:USER_SGPR: 6
; COMPUTE_PGM_RSRC2:TRAP_HANDLER: 0
; COMPUTE_PGM_RSRC2:TGID_X_EN: 1
; COMPUTE_PGM_RSRC2:TGID_Y_EN: 0
; COMPUTE_PGM_RSRC2:TGID_Z_EN: 1
; COMPUTE_PGM_RSRC2:TIDIG_COMP_CNT: 1
	.section	.text._ZL19rocblas_sbmv_kernelILb0ELi64ELi16EdPKPKdPKPdEviiT2_lT3_lllS8_lllS7_lT4_llli,"axG",@progbits,_ZL19rocblas_sbmv_kernelILb0ELi64ELi16EdPKPKdPKPdEviiT2_lT3_lllS8_lllS7_lT4_llli,comdat
	.globl	_ZL19rocblas_sbmv_kernelILb0ELi64ELi16EdPKPKdPKPdEviiT2_lT3_lllS8_lllS7_lT4_llli ; -- Begin function _ZL19rocblas_sbmv_kernelILb0ELi64ELi16EdPKPKdPKPdEviiT2_lT3_lllS8_lllS7_lT4_llli
	.p2align	8
	.type	_ZL19rocblas_sbmv_kernelILb0ELi64ELi16EdPKPKdPKPdEviiT2_lT3_lllS8_lllS7_lT4_llli,@function
_ZL19rocblas_sbmv_kernelILb0ELi64ELi16EdPKPKdPKPdEviiT2_lT3_lllS8_lllS7_lT4_llli: ; @_ZL19rocblas_sbmv_kernelILb0ELi64ELi16EdPKPKdPKPdEviiT2_lT3_lllS8_lllS7_lT4_llli
; %bb.0:
	s_load_dwordx2 s[0:1], s[4:5], 0x9c
	s_mov_b32 s24, s7
	s_waitcnt lgkmcnt(0)
	s_lshr_b32 s2, s0, 16
	s_and_b32 s7, s0, 0xffff
	s_and_b32 s1, s1, 0xffff
	s_mul_i32 s0, s2, s7
	s_mul_i32 s0, s0, s1
	s_cmpk_lg_i32 s0, 0x400
	s_cbranch_scc1 .LBB15_36
; %bb.1:
	s_load_dwordx2 s[10:11], s[4:5], 0x8
	s_load_dwordx2 s[8:9], s[4:5], 0x58
	s_waitcnt lgkmcnt(0)
	v_cmp_eq_f64_e64 s[26:27], s[10:11], 0
	v_cmp_eq_f64_e64 s[0:1], s[8:9], 1.0
	s_and_b64 s[0:1], s[26:27], s[0:1]
	s_and_b64 vcc, exec, s[0:1]
	s_cbranch_vccnz .LBB15_36
; %bb.2:
	v_cmp_neq_f64_e64 s[16:17], s[10:11], 0
	s_load_dwordx4 s[0:3], s[4:5], 0x18
	s_load_dwordx2 s[20:21], s[4:5], 0x28
	s_mov_b64 s[22:23], 0
	s_mov_b32 s25, 0
	s_and_b64 vcc, exec, s[16:17]
	s_cbranch_vccnz .LBB15_4
; %bb.3:
	s_cbranch_execz .LBB15_5
	s_branch .LBB15_6
.LBB15_4:
.LBB15_5:
	s_lshl_b64 s[12:13], s[24:25], 3
	s_waitcnt lgkmcnt(0)
	s_add_u32 s0, s0, s12
	s_addc_u32 s1, s1, s13
	s_load_dwordx2 s[0:1], s[0:1], 0x0
	s_lshl_b64 s[2:3], s[2:3], 3
	s_waitcnt lgkmcnt(0)
	s_add_u32 s22, s0, s2
	s_addc_u32 s23, s1, s3
.LBB15_6:
	s_waitcnt lgkmcnt(0)
	s_load_dwordx4 s[0:3], s[4:5], 0x38
	s_load_dwordx2 s[14:15], s[4:5], 0x48
	s_mov_b64 s[12:13], 0
	s_andn2_b64 vcc, exec, s[16:17]
	s_mov_b64 s[18:19], 0
	s_cbranch_vccnz .LBB15_8
; %bb.7:
	s_lshl_b64 s[16:17], s[24:25], 3
	s_waitcnt lgkmcnt(0)
	s_add_u32 s0, s0, s16
	s_addc_u32 s1, s1, s17
	s_load_dwordx2 s[0:1], s[0:1], 0x0
	s_lshl_b64 s[2:3], s[2:3], 3
	s_waitcnt lgkmcnt(0)
	s_add_u32 s18, s0, s2
	s_addc_u32 s19, s1, s3
.LBB15_8:
	s_load_dwordx4 s[28:31], s[4:5], 0x68
	s_load_dwordx2 s[16:17], s[4:5], 0x0
	s_waitcnt lgkmcnt(0)
	s_load_dwordx2 s[2:3], s[4:5], 0x78
	s_lshl_b64 s[0:1], s[24:25], 3
	v_mad_u32_u24 v12, v1, s7, v0
	s_add_u32 s0, s28, s0
	s_addc_u32 s1, s29, s1
	s_load_dwordx2 s[0:1], s[0:1], 0x0
	s_lshl_b64 s[4:5], s[30:31], 3
	s_waitcnt lgkmcnt(0)
	s_add_u32 s30, s0, s4
	s_addc_u32 s31, s1, s5
	s_andn2_b64 vcc, exec, s[26:27]
	v_cmp_gt_u32_e64 s[0:1], 64, v12
	s_cbranch_vccnz .LBB15_13
; %bb.9:
	v_lshl_add_u32 v4, s6, 6, v12
	v_cmp_gt_i32_e32 vcc, s16, v4
	s_and_b64 s[24:25], s[0:1], vcc
	s_mov_b64 s[0:1], 0
                                        ; implicit-def: $vgpr0_vgpr1
                                        ; implicit-def: $vgpr2_vgpr3
	s_and_saveexec_b64 s[4:5], s[24:25]
	s_cbranch_execz .LBB15_14
; %bb.10:
	v_cmp_eq_f64_e64 s[12:13], s[8:9], 0
	v_ashrrev_i32_e32 v0, 31, v4
	v_mul_lo_u32 v5, s3, v4
	v_mul_lo_u32 v6, s2, v0
	v_mad_u64_u32 v[2:3], s[24:25], s2, v4, 0
	v_mov_b32_e32 v0, 0
	v_mov_b32_e32 v1, 0
	v_add3_u32 v3, v3, v6, v5
	s_and_b64 vcc, exec, s[12:13]
	s_cbranch_vccnz .LBB15_12
; %bb.11:
	v_lshlrev_b64 v[0:1], 3, v[2:3]
	v_mov_b32_e32 v4, s31
	v_add_co_u32_e32 v0, vcc, s30, v0
	v_addc_co_u32_e32 v1, vcc, v4, v1, vcc
	flat_load_dwordx2 v[0:1], v[0:1]
	s_waitcnt vmcnt(0) lgkmcnt(0)
	v_mul_f64 v[0:1], s[8:9], v[0:1]
.LBB15_12:
	s_mov_b64 s[12:13], exec
	s_or_b64 exec, exec, s[4:5]
	s_and_b64 vcc, exec, s[0:1]
	s_cbranch_vccnz .LBB15_15
	s_branch .LBB15_34
.LBB15_13:
                                        ; implicit-def: $vgpr0_vgpr1
                                        ; implicit-def: $vgpr2_vgpr3
	s_cbranch_execnz .LBB15_15
	s_branch .LBB15_34
.LBB15_14:
	s_or_b64 exec, exec, s[4:5]
	s_and_b64 vcc, exec, s[0:1]
	s_cbranch_vccz .LBB15_34
.LBB15_15:
	v_lshrrev_b32_e32 v0, 6, v12
	v_mov_b32_e32 v2, 0
	s_lshl_b32 s33, s6, 6
	v_mov_b32_e32 v3, 0
	v_cmp_gt_i32_e32 vcc, s16, v0
	s_and_saveexec_b64 s[4:5], vcc
	s_cbranch_execz .LBB15_29
; %bb.16:
	v_and_b32_e32 v3, 63, v12
	v_or_b32_e32 v13, s33, v3
	v_mul_lo_u32 v4, s21, v13
	v_mad_u64_u32 v[1:2], s[0:1], s20, v13, 0
	s_ashr_i32 s0, s33, 31
	s_mul_i32 s0, s20, s0
	v_add_u32_e32 v3, s33, v3
	v_add3_u32 v2, v2, s0, v4
	v_ashrrev_i32_e32 v4, 31, v3
	s_lshl_b64 s[6:7], s[20:21], 3
	v_lshlrev_b64 v[4:5], 3, v[3:4]
	s_add_u32 s0, s6, -8
	v_lshlrev_b64 v[1:2], 3, v[1:2]
	v_mad_u64_u32 v[4:5], s[0:1], v0, s0, v[4:5]
	v_mov_b32_e32 v7, s23
	v_add_co_u32_e64 v14, s[0:1], s22, v1
	v_addc_co_u32_e64 v15, s[0:1], v7, v2, s[0:1]
	s_addc_u32 s0, s7, -1
	v_mov_b32_e32 v2, v5
	v_mad_u64_u32 v[5:6], s[0:1], v0, s0, v[2:3]
	v_add_co_u32_e64 v4, s[0:1], s22, v4
	v_addc_co_u32_e64 v5, s[0:1], v7, v5, s[0:1]
	s_lshl_b64 s[0:1], s[20:21], 7
	v_mov_b32_e32 v1, 0
	s_add_u32 s34, s0, 0xffffff80
	s_addc_u32 s0, s1, -1
	v_sub_u32_e32 v16, 0, v3
	v_sub_u32_e32 v17, v3, v0
	v_mov_b32_e32 v2, 0
	v_mov_b32_e32 v7, v1
	v_cmp_gt_i32_e32 vcc, s16, v13
	v_mov_b32_e32 v3, 0
	s_mov_b64 s[6:7], 0
	v_mov_b32_e32 v18, s0
	v_mov_b32_e32 v6, v0
	s_branch .LBB15_19
.LBB15_17:                              ;   in Loop: Header=BB15_19 Depth=1
	s_or_b64 exec, exec, s[24:25]
.LBB15_18:                              ;   in Loop: Header=BB15_19 Depth=1
	s_or_b64 exec, exec, s[20:21]
	v_add_co_u32_e64 v6, s[0:1], 16, v6
	v_addc_co_u32_e64 v7, s[0:1], 0, v7, s[0:1]
	v_add_co_u32_e64 v4, s[0:1], s34, v4
	v_addc_co_u32_e64 v5, s[0:1], v5, v18, s[0:1]
	v_cmp_le_i32_e64 s[0:1], s16, v6
	v_add_u32_e32 v0, 16, v0
	s_or_b64 s[6:7], s[0:1], s[6:7]
	v_add_u32_e32 v17, -16, v17
	s_andn2_b64 exec, exec, s[6:7]
	s_cbranch_execz .LBB15_28
.LBB15_19:                              ; =>This Inner Loop Header: Depth=1
	s_and_saveexec_b64 s[20:21], vcc
	s_cbranch_execz .LBB15_18
; %bb.20:                               ;   in Loop: Header=BB15_19 Depth=1
	v_cmp_ge_i32_e64 s[0:1], v13, v6
	s_mov_b64 s[22:23], 0
	s_and_saveexec_b64 s[24:25], s[0:1]
	s_xor_b64 s[24:25], exec, s[24:25]
; %bb.21:                               ;   in Loop: Header=BB15_19 Depth=1
	v_cmp_ge_i32_e64 s[0:1], s17, v17
	s_and_b64 s[22:23], s[0:1], exec
; %bb.22:                               ;   in Loop: Header=BB15_19 Depth=1
	s_or_saveexec_b64 s[24:25], s[24:25]
	v_mov_b32_e32 v9, v5
	v_mov_b32_e32 v11, v7
	;; [unrolled: 1-line block ×4, first 2 shown]
	s_xor_b64 exec, exec, s[24:25]
	s_cbranch_execz .LBB15_26
; %bb.23:                               ;   in Loop: Header=BB15_19 Depth=1
	v_add_u32_e32 v8, v16, v6
	v_cmp_ge_i32_e64 s[0:1], s17, v8
	s_mov_b64 s[28:29], s[22:23]
                                        ; implicit-def: $vgpr8_vgpr9
                                        ; implicit-def: $vgpr10_vgpr11
	s_and_saveexec_b64 s[26:27], s[0:1]
; %bb.24:                               ;   in Loop: Header=BB15_19 Depth=1
	v_sub_u32_e32 v8, v0, v13
	v_ashrrev_i32_e32 v9, 31, v8
	v_lshlrev_b64 v[8:9], 3, v[8:9]
	v_mov_b32_e32 v11, v1
	v_add_co_u32_e64 v8, s[0:1], v14, v8
	v_addc_co_u32_e64 v9, s[0:1], v15, v9, s[0:1]
	s_or_b64 s[28:29], s[22:23], exec
	v_mov_b32_e32 v10, v0
; %bb.25:                               ;   in Loop: Header=BB15_19 Depth=1
	s_or_b64 exec, exec, s[26:27]
	s_andn2_b64 s[0:1], s[22:23], exec
	s_and_b64 s[22:23], s[28:29], exec
	s_or_b64 s[22:23], s[0:1], s[22:23]
.LBB15_26:                              ;   in Loop: Header=BB15_19 Depth=1
	s_or_b64 exec, exec, s[24:25]
	s_and_saveexec_b64 s[24:25], s[22:23]
	s_cbranch_execz .LBB15_17
; %bb.27:                               ;   in Loop: Header=BB15_19 Depth=1
	v_mul_lo_u32 v19, v11, s14
	v_mul_lo_u32 v20, v10, s15
	v_mad_u64_u32 v[10:11], s[0:1], v10, s14, 0
	flat_load_dwordx2 v[8:9], v[8:9]
	v_add3_u32 v11, v11, v20, v19
	v_lshlrev_b64 v[10:11], 3, v[10:11]
	v_mov_b32_e32 v19, s19
	v_add_co_u32_e64 v10, s[0:1], s18, v10
	v_addc_co_u32_e64 v11, s[0:1], v19, v11, s[0:1]
	flat_load_dwordx2 v[10:11], v[10:11]
	s_waitcnt vmcnt(0) lgkmcnt(0)
	v_fma_f64 v[2:3], v[8:9], v[10:11], v[2:3]
	s_branch .LBB15_17
.LBB15_28:
	s_or_b64 exec, exec, s[6:7]
.LBB15_29:
	s_or_b64 exec, exec, s[4:5]
	v_add_u32_e32 v5, s33, v12
	v_cmp_gt_u32_e32 vcc, 64, v12
	v_cmp_gt_i32_e64 s[0:1], s16, v5
	v_lshlrev_b32_e32 v4, 3, v12
	s_and_b64 s[4:5], vcc, s[0:1]
	ds_write_b64 v4, v[2:3]
	s_waitcnt lgkmcnt(0)
	s_barrier
                                        ; implicit-def: $vgpr0_vgpr1
                                        ; implicit-def: $vgpr2_vgpr3
	s_and_saveexec_b64 s[0:1], s[4:5]
	s_cbranch_execz .LBB15_33
; %bb.30:
	ds_read2st64_b64 v[0:3], v4 offset1:1
	ds_read2st64_b64 v[6:9], v4 offset0:2 offset1:3
	v_cmp_eq_f64_e64 s[4:5], s[8:9], 0
	s_waitcnt lgkmcnt(1)
	v_add_f64 v[0:1], v[0:1], v[2:3]
	s_and_b64 vcc, exec, s[4:5]
	s_waitcnt lgkmcnt(0)
	v_add_f64 v[0:1], v[6:7], v[0:1]
	v_add_f64 v[10:11], v[8:9], v[0:1]
	ds_read2st64_b64 v[0:3], v4 offset0:4 offset1:5
	ds_read2st64_b64 v[6:9], v4 offset0:6 offset1:7
	s_waitcnt lgkmcnt(1)
	v_add_f64 v[0:1], v[0:1], v[10:11]
	v_add_f64 v[0:1], v[2:3], v[0:1]
	s_waitcnt lgkmcnt(0)
	v_add_f64 v[0:1], v[6:7], v[0:1]
	v_add_f64 v[10:11], v[8:9], v[0:1]
	ds_read2st64_b64 v[0:3], v4 offset0:8 offset1:9
	ds_read2st64_b64 v[6:9], v4 offset0:10 offset1:11
	s_waitcnt lgkmcnt(1)
	v_add_f64 v[0:1], v[0:1], v[10:11]
	v_add_f64 v[0:1], v[2:3], v[0:1]
	;; [unrolled: 8-line block ×3, first 2 shown]
	s_waitcnt lgkmcnt(0)
	v_add_f64 v[0:1], v[6:7], v[0:1]
	v_add_f64 v[6:7], v[8:9], v[0:1]
	v_ashrrev_i32_e32 v0, 31, v5
	v_mul_lo_u32 v9, s2, v0
	v_mul_lo_u32 v8, s3, v5
	v_mad_u64_u32 v[2:3], s[2:3], s2, v5, 0
	v_add3_u32 v3, v3, v9, v8
	v_mul_f64 v[0:1], s[10:11], v[6:7]
	ds_write_b64 v4, v[6:7]
	s_cbranch_vccnz .LBB15_32
; %bb.31:
	v_lshlrev_b64 v[4:5], 3, v[2:3]
	v_mov_b32_e32 v6, s31
	v_add_co_u32_e32 v4, vcc, s30, v4
	v_addc_co_u32_e32 v5, vcc, v6, v5, vcc
	flat_load_dwordx2 v[4:5], v[4:5]
	s_waitcnt vmcnt(0) lgkmcnt(0)
	v_fma_f64 v[0:1], s[8:9], v[4:5], v[0:1]
.LBB15_32:
	s_or_b64 s[12:13], s[12:13], exec
.LBB15_33:
	s_or_b64 exec, exec, s[0:1]
.LBB15_34:
	s_and_saveexec_b64 s[0:1], s[12:13]
	s_cbranch_execz .LBB15_36
; %bb.35:
	v_lshlrev_b64 v[2:3], 3, v[2:3]
	v_mov_b32_e32 v4, s31
	v_add_co_u32_e32 v2, vcc, s30, v2
	v_addc_co_u32_e32 v3, vcc, v4, v3, vcc
	flat_store_dwordx2 v[2:3], v[0:1]
.LBB15_36:
	s_endpgm
	.section	.rodata,"a",@progbits
	.p2align	6, 0x0
	.amdhsa_kernel _ZL19rocblas_sbmv_kernelILb0ELi64ELi16EdPKPKdPKPdEviiT2_lT3_lllS8_lllS7_lT4_llli
		.amdhsa_group_segment_fixed_size 8192
		.amdhsa_private_segment_fixed_size 0
		.amdhsa_kernarg_size 400
		.amdhsa_user_sgpr_count 6
		.amdhsa_user_sgpr_private_segment_buffer 1
		.amdhsa_user_sgpr_dispatch_ptr 0
		.amdhsa_user_sgpr_queue_ptr 0
		.amdhsa_user_sgpr_kernarg_segment_ptr 1
		.amdhsa_user_sgpr_dispatch_id 0
		.amdhsa_user_sgpr_flat_scratch_init 0
		.amdhsa_user_sgpr_private_segment_size 0
		.amdhsa_uses_dynamic_stack 0
		.amdhsa_system_sgpr_private_segment_wavefront_offset 0
		.amdhsa_system_sgpr_workgroup_id_x 1
		.amdhsa_system_sgpr_workgroup_id_y 0
		.amdhsa_system_sgpr_workgroup_id_z 1
		.amdhsa_system_sgpr_workgroup_info 0
		.amdhsa_system_vgpr_workitem_id 1
		.amdhsa_next_free_vgpr 29
		.amdhsa_next_free_sgpr 61
		.amdhsa_reserve_vcc 1
		.amdhsa_reserve_flat_scratch 0
		.amdhsa_float_round_mode_32 0
		.amdhsa_float_round_mode_16_64 0
		.amdhsa_float_denorm_mode_32 3
		.amdhsa_float_denorm_mode_16_64 3
		.amdhsa_dx10_clamp 1
		.amdhsa_ieee_mode 1
		.amdhsa_fp16_overflow 0
		.amdhsa_exception_fp_ieee_invalid_op 0
		.amdhsa_exception_fp_denorm_src 0
		.amdhsa_exception_fp_ieee_div_zero 0
		.amdhsa_exception_fp_ieee_overflow 0
		.amdhsa_exception_fp_ieee_underflow 0
		.amdhsa_exception_fp_ieee_inexact 0
		.amdhsa_exception_int_div_zero 0
	.end_amdhsa_kernel
	.section	.text._ZL19rocblas_sbmv_kernelILb0ELi64ELi16EdPKPKdPKPdEviiT2_lT3_lllS8_lllS7_lT4_llli,"axG",@progbits,_ZL19rocblas_sbmv_kernelILb0ELi64ELi16EdPKPKdPKPdEviiT2_lT3_lllS8_lllS7_lT4_llli,comdat
.Lfunc_end15:
	.size	_ZL19rocblas_sbmv_kernelILb0ELi64ELi16EdPKPKdPKPdEviiT2_lT3_lllS8_lllS7_lT4_llli, .Lfunc_end15-_ZL19rocblas_sbmv_kernelILb0ELi64ELi16EdPKPKdPKPdEviiT2_lT3_lllS8_lllS7_lT4_llli
                                        ; -- End function
	.set _ZL19rocblas_sbmv_kernelILb0ELi64ELi16EdPKPKdPKPdEviiT2_lT3_lllS8_lllS7_lT4_llli.num_vgpr, 21
	.set _ZL19rocblas_sbmv_kernelILb0ELi64ELi16EdPKPKdPKPdEviiT2_lT3_lllS8_lllS7_lT4_llli.num_agpr, 0
	.set _ZL19rocblas_sbmv_kernelILb0ELi64ELi16EdPKPKdPKPdEviiT2_lT3_lllS8_lllS7_lT4_llli.numbered_sgpr, 35
	.set _ZL19rocblas_sbmv_kernelILb0ELi64ELi16EdPKPKdPKPdEviiT2_lT3_lllS8_lllS7_lT4_llli.num_named_barrier, 0
	.set _ZL19rocblas_sbmv_kernelILb0ELi64ELi16EdPKPKdPKPdEviiT2_lT3_lllS8_lllS7_lT4_llli.private_seg_size, 0
	.set _ZL19rocblas_sbmv_kernelILb0ELi64ELi16EdPKPKdPKPdEviiT2_lT3_lllS8_lllS7_lT4_llli.uses_vcc, 1
	.set _ZL19rocblas_sbmv_kernelILb0ELi64ELi16EdPKPKdPKPdEviiT2_lT3_lllS8_lllS7_lT4_llli.uses_flat_scratch, 0
	.set _ZL19rocblas_sbmv_kernelILb0ELi64ELi16EdPKPKdPKPdEviiT2_lT3_lllS8_lllS7_lT4_llli.has_dyn_sized_stack, 0
	.set _ZL19rocblas_sbmv_kernelILb0ELi64ELi16EdPKPKdPKPdEviiT2_lT3_lllS8_lllS7_lT4_llli.has_recursion, 0
	.set _ZL19rocblas_sbmv_kernelILb0ELi64ELi16EdPKPKdPKPdEviiT2_lT3_lllS8_lllS7_lT4_llli.has_indirect_call, 0
	.section	.AMDGPU.csdata,"",@progbits
; Kernel info:
; codeLenInByte = 1488
; TotalNumSgprs: 39
; NumVgprs: 21
; ScratchSize: 0
; MemoryBound: 1
; FloatMode: 240
; IeeeMode: 1
; LDSByteSize: 8192 bytes/workgroup (compile time only)
; SGPRBlocks: 8
; VGPRBlocks: 7
; NumSGPRsForWavesPerEU: 65
; NumVGPRsForWavesPerEU: 29
; Occupancy: 8
; WaveLimiterHint : 1
; COMPUTE_PGM_RSRC2:SCRATCH_EN: 0
; COMPUTE_PGM_RSRC2:USER_SGPR: 6
; COMPUTE_PGM_RSRC2:TRAP_HANDLER: 0
; COMPUTE_PGM_RSRC2:TGID_X_EN: 1
; COMPUTE_PGM_RSRC2:TGID_Y_EN: 0
; COMPUTE_PGM_RSRC2:TGID_Z_EN: 1
; COMPUTE_PGM_RSRC2:TIDIG_COMP_CNT: 1
	.section	.AMDGPU.gpr_maximums,"",@progbits
	.set amdgpu.max_num_vgpr, 0
	.set amdgpu.max_num_agpr, 0
	.set amdgpu.max_num_sgpr, 0
	.section	.AMDGPU.csdata,"",@progbits
	.type	__hip_cuid_4aa2a749f7931b55,@object ; @__hip_cuid_4aa2a749f7931b55
	.section	.bss,"aw",@nobits
	.globl	__hip_cuid_4aa2a749f7931b55
__hip_cuid_4aa2a749f7931b55:
	.byte	0                               ; 0x0
	.size	__hip_cuid_4aa2a749f7931b55, 1

	.ident	"AMD clang version 22.0.0git (https://github.com/RadeonOpenCompute/llvm-project roc-7.2.4 26084 f58b06dce1f9c15707c5f808fd002e18c2accf7e)"
	.section	".note.GNU-stack","",@progbits
	.addrsig
	.addrsig_sym __hip_cuid_4aa2a749f7931b55
	.amdgpu_metadata
---
amdhsa.kernels:
  - .args:
      - .offset:         0
        .size:           4
        .value_kind:     by_value
      - .offset:         4
        .size:           4
        .value_kind:     by_value
      - .address_space:  global
        .offset:         8
        .size:           8
        .value_kind:     global_buffer
      - .offset:         16
        .size:           8
        .value_kind:     by_value
      - .address_space:  global
        .offset:         24
        .size:           8
        .value_kind:     global_buffer
      - .offset:         32
        .size:           8
        .value_kind:     by_value
      - .offset:         40
        .size:           8
        .value_kind:     by_value
      - .offset:         48
        .size:           8
        .value_kind:     by_value
      - .address_space:  global
        .offset:         56
        .size:           8
        .value_kind:     global_buffer
      - .offset:         64
        .size:           8
        .value_kind:     by_value
      - .offset:         72
        .size:           8
        .value_kind:     by_value
      - .offset:         80
        .size:           8
        .value_kind:     by_value
      - .address_space:  global
        .offset:         88
        .size:           8
        .value_kind:     global_buffer
      - .offset:         96
        .size:           8
        .value_kind:     by_value
      - .address_space:  global
        .offset:         104
        .size:           8
        .value_kind:     global_buffer
      - .offset:         112
        .size:           8
        .value_kind:     by_value
      - .offset:         120
        .size:           8
        .value_kind:     by_value
      - .offset:         128
        .size:           8
        .value_kind:     by_value
      - .offset:         136
        .size:           4
        .value_kind:     by_value
      - .offset:         144
        .size:           4
        .value_kind:     hidden_block_count_x
      - .offset:         148
        .size:           4
        .value_kind:     hidden_block_count_y
      - .offset:         152
        .size:           4
        .value_kind:     hidden_block_count_z
      - .offset:         156
        .size:           2
        .value_kind:     hidden_group_size_x
      - .offset:         158
        .size:           2
        .value_kind:     hidden_group_size_y
      - .offset:         160
        .size:           2
        .value_kind:     hidden_group_size_z
      - .offset:         162
        .size:           2
        .value_kind:     hidden_remainder_x
      - .offset:         164
        .size:           2
        .value_kind:     hidden_remainder_y
      - .offset:         166
        .size:           2
        .value_kind:     hidden_remainder_z
      - .offset:         184
        .size:           8
        .value_kind:     hidden_global_offset_x
      - .offset:         192
        .size:           8
        .value_kind:     hidden_global_offset_y
      - .offset:         200
        .size:           8
        .value_kind:     hidden_global_offset_z
      - .offset:         208
        .size:           2
        .value_kind:     hidden_grid_dims
    .group_segment_fixed_size: 4096
    .kernarg_segment_align: 8
    .kernarg_segment_size: 400
    .language:       OpenCL C
    .language_version:
      - 2
      - 0
    .max_flat_workgroup_size: 1024
    .name:           _ZL19rocblas_sbmv_kernelILb1ELi64ELi16EPKfS1_PfEviiT2_lT3_lllS4_lllS3_lT4_llli
    .private_segment_fixed_size: 0
    .sgpr_count:     56
    .sgpr_spill_count: 0
    .symbol:         _ZL19rocblas_sbmv_kernelILb1ELi64ELi16EPKfS1_PfEviiT2_lT3_lllS4_lllS3_lT4_llli.kd
    .uniform_work_group_size: 1
    .uses_dynamic_stack: false
    .vgpr_count:     21
    .vgpr_spill_count: 0
    .wavefront_size: 64
  - .args:
      - .offset:         0
        .size:           4
        .value_kind:     by_value
      - .offset:         4
        .size:           4
        .value_kind:     by_value
      - .address_space:  global
        .offset:         8
        .size:           8
        .value_kind:     global_buffer
      - .offset:         16
        .size:           8
        .value_kind:     by_value
      - .address_space:  global
        .offset:         24
        .size:           8
        .value_kind:     global_buffer
      - .offset:         32
        .size:           8
        .value_kind:     by_value
      - .offset:         40
        .size:           8
        .value_kind:     by_value
      - .offset:         48
        .size:           8
        .value_kind:     by_value
      - .address_space:  global
        .offset:         56
        .size:           8
        .value_kind:     global_buffer
      - .offset:         64
        .size:           8
        .value_kind:     by_value
      - .offset:         72
        .size:           8
        .value_kind:     by_value
      - .offset:         80
        .size:           8
        .value_kind:     by_value
      - .address_space:  global
        .offset:         88
        .size:           8
        .value_kind:     global_buffer
      - .offset:         96
        .size:           8
        .value_kind:     by_value
      - .address_space:  global
        .offset:         104
        .size:           8
        .value_kind:     global_buffer
      - .offset:         112
        .size:           8
        .value_kind:     by_value
      - .offset:         120
        .size:           8
        .value_kind:     by_value
      - .offset:         128
        .size:           8
        .value_kind:     by_value
      - .offset:         136
        .size:           4
        .value_kind:     by_value
      - .offset:         144
        .size:           4
        .value_kind:     hidden_block_count_x
      - .offset:         148
        .size:           4
        .value_kind:     hidden_block_count_y
      - .offset:         152
        .size:           4
        .value_kind:     hidden_block_count_z
      - .offset:         156
        .size:           2
        .value_kind:     hidden_group_size_x
      - .offset:         158
        .size:           2
        .value_kind:     hidden_group_size_y
      - .offset:         160
        .size:           2
        .value_kind:     hidden_group_size_z
      - .offset:         162
        .size:           2
        .value_kind:     hidden_remainder_x
      - .offset:         164
        .size:           2
        .value_kind:     hidden_remainder_y
      - .offset:         166
        .size:           2
        .value_kind:     hidden_remainder_z
      - .offset:         184
        .size:           8
        .value_kind:     hidden_global_offset_x
      - .offset:         192
        .size:           8
        .value_kind:     hidden_global_offset_y
      - .offset:         200
        .size:           8
        .value_kind:     hidden_global_offset_z
      - .offset:         208
        .size:           2
        .value_kind:     hidden_grid_dims
    .group_segment_fixed_size: 4096
    .kernarg_segment_align: 8
    .kernarg_segment_size: 400
    .language:       OpenCL C
    .language_version:
      - 2
      - 0
    .max_flat_workgroup_size: 1024
    .name:           _ZL19rocblas_sbmv_kernelILb0ELi64ELi16EPKfS1_PfEviiT2_lT3_lllS4_lllS3_lT4_llli
    .private_segment_fixed_size: 0
    .sgpr_count:     56
    .sgpr_spill_count: 0
    .symbol:         _ZL19rocblas_sbmv_kernelILb0ELi64ELi16EPKfS1_PfEviiT2_lT3_lllS4_lllS3_lT4_llli.kd
    .uniform_work_group_size: 1
    .uses_dynamic_stack: false
    .vgpr_count:     21
    .vgpr_spill_count: 0
    .wavefront_size: 64
  - .args:
      - .offset:         0
        .size:           4
        .value_kind:     by_value
      - .offset:         4
        .size:           4
        .value_kind:     by_value
      - .offset:         8
        .size:           4
        .value_kind:     by_value
      - .offset:         16
        .size:           8
        .value_kind:     by_value
      - .address_space:  global
        .offset:         24
        .size:           8
        .value_kind:     global_buffer
      - .offset:         32
        .size:           8
        .value_kind:     by_value
      - .offset:         40
        .size:           8
        .value_kind:     by_value
      - .offset:         48
        .size:           8
        .value_kind:     by_value
      - .address_space:  global
        .offset:         56
        .size:           8
        .value_kind:     global_buffer
      - .offset:         64
        .size:           8
        .value_kind:     by_value
      - .offset:         72
        .size:           8
        .value_kind:     by_value
      - .offset:         80
        .size:           8
        .value_kind:     by_value
      - .offset:         88
        .size:           4
        .value_kind:     by_value
      - .offset:         96
        .size:           8
        .value_kind:     by_value
      - .address_space:  global
        .offset:         104
        .size:           8
        .value_kind:     global_buffer
      - .offset:         112
        .size:           8
        .value_kind:     by_value
      - .offset:         120
        .size:           8
        .value_kind:     by_value
      - .offset:         128
        .size:           8
        .value_kind:     by_value
      - .offset:         136
        .size:           4
        .value_kind:     by_value
      - .offset:         144
        .size:           4
        .value_kind:     hidden_block_count_x
      - .offset:         148
        .size:           4
        .value_kind:     hidden_block_count_y
      - .offset:         152
        .size:           4
        .value_kind:     hidden_block_count_z
      - .offset:         156
        .size:           2
        .value_kind:     hidden_group_size_x
      - .offset:         158
        .size:           2
        .value_kind:     hidden_group_size_y
      - .offset:         160
        .size:           2
        .value_kind:     hidden_group_size_z
      - .offset:         162
        .size:           2
        .value_kind:     hidden_remainder_x
      - .offset:         164
        .size:           2
        .value_kind:     hidden_remainder_y
      - .offset:         166
        .size:           2
        .value_kind:     hidden_remainder_z
      - .offset:         184
        .size:           8
        .value_kind:     hidden_global_offset_x
      - .offset:         192
        .size:           8
        .value_kind:     hidden_global_offset_y
      - .offset:         200
        .size:           8
        .value_kind:     hidden_global_offset_z
      - .offset:         208
        .size:           2
        .value_kind:     hidden_grid_dims
    .group_segment_fixed_size: 4096
    .kernarg_segment_align: 8
    .kernarg_segment_size: 400
    .language:       OpenCL C
    .language_version:
      - 2
      - 0
    .max_flat_workgroup_size: 1024
    .name:           _ZL19rocblas_sbmv_kernelILb1ELi64ELi16EfPKfPfEviiT2_lT3_lllS4_lllS3_lT4_llli
    .private_segment_fixed_size: 0
    .sgpr_count:     40
    .sgpr_spill_count: 0
    .symbol:         _ZL19rocblas_sbmv_kernelILb1ELi64ELi16EfPKfPfEviiT2_lT3_lllS4_lllS3_lT4_llli.kd
    .uniform_work_group_size: 1
    .uses_dynamic_stack: false
    .vgpr_count:     21
    .vgpr_spill_count: 0
    .wavefront_size: 64
  - .args:
      - .offset:         0
        .size:           4
        .value_kind:     by_value
      - .offset:         4
        .size:           4
        .value_kind:     by_value
      - .offset:         8
        .size:           4
        .value_kind:     by_value
      - .offset:         16
        .size:           8
        .value_kind:     by_value
      - .address_space:  global
        .offset:         24
        .size:           8
        .value_kind:     global_buffer
      - .offset:         32
        .size:           8
        .value_kind:     by_value
      - .offset:         40
        .size:           8
        .value_kind:     by_value
      - .offset:         48
        .size:           8
        .value_kind:     by_value
      - .address_space:  global
        .offset:         56
        .size:           8
        .value_kind:     global_buffer
      - .offset:         64
        .size:           8
        .value_kind:     by_value
      - .offset:         72
        .size:           8
        .value_kind:     by_value
      - .offset:         80
        .size:           8
        .value_kind:     by_value
      - .offset:         88
        .size:           4
        .value_kind:     by_value
      - .offset:         96
        .size:           8
        .value_kind:     by_value
      - .address_space:  global
        .offset:         104
        .size:           8
        .value_kind:     global_buffer
      - .offset:         112
        .size:           8
        .value_kind:     by_value
      - .offset:         120
        .size:           8
        .value_kind:     by_value
      - .offset:         128
        .size:           8
        .value_kind:     by_value
      - .offset:         136
        .size:           4
        .value_kind:     by_value
      - .offset:         144
        .size:           4
        .value_kind:     hidden_block_count_x
      - .offset:         148
        .size:           4
        .value_kind:     hidden_block_count_y
      - .offset:         152
        .size:           4
        .value_kind:     hidden_block_count_z
      - .offset:         156
        .size:           2
        .value_kind:     hidden_group_size_x
      - .offset:         158
        .size:           2
        .value_kind:     hidden_group_size_y
      - .offset:         160
        .size:           2
        .value_kind:     hidden_group_size_z
      - .offset:         162
        .size:           2
        .value_kind:     hidden_remainder_x
      - .offset:         164
        .size:           2
        .value_kind:     hidden_remainder_y
      - .offset:         166
        .size:           2
        .value_kind:     hidden_remainder_z
      - .offset:         184
        .size:           8
        .value_kind:     hidden_global_offset_x
      - .offset:         192
        .size:           8
        .value_kind:     hidden_global_offset_y
      - .offset:         200
        .size:           8
        .value_kind:     hidden_global_offset_z
      - .offset:         208
        .size:           2
        .value_kind:     hidden_grid_dims
    .group_segment_fixed_size: 4096
    .kernarg_segment_align: 8
    .kernarg_segment_size: 400
    .language:       OpenCL C
    .language_version:
      - 2
      - 0
    .max_flat_workgroup_size: 1024
    .name:           _ZL19rocblas_sbmv_kernelILb0ELi64ELi16EfPKfPfEviiT2_lT3_lllS4_lllS3_lT4_llli
    .private_segment_fixed_size: 0
    .sgpr_count:     40
    .sgpr_spill_count: 0
    .symbol:         _ZL19rocblas_sbmv_kernelILb0ELi64ELi16EfPKfPfEviiT2_lT3_lllS4_lllS3_lT4_llli.kd
    .uniform_work_group_size: 1
    .uses_dynamic_stack: false
    .vgpr_count:     21
    .vgpr_spill_count: 0
    .wavefront_size: 64
  - .args:
      - .offset:         0
        .size:           4
        .value_kind:     by_value
      - .offset:         4
        .size:           4
        .value_kind:     by_value
      - .address_space:  global
        .offset:         8
        .size:           8
        .value_kind:     global_buffer
      - .offset:         16
        .size:           8
        .value_kind:     by_value
      - .address_space:  global
        .offset:         24
        .size:           8
        .value_kind:     global_buffer
      - .offset:         32
        .size:           8
        .value_kind:     by_value
      - .offset:         40
        .size:           8
        .value_kind:     by_value
      - .offset:         48
        .size:           8
        .value_kind:     by_value
      - .address_space:  global
        .offset:         56
        .size:           8
        .value_kind:     global_buffer
      - .offset:         64
        .size:           8
        .value_kind:     by_value
      - .offset:         72
        .size:           8
        .value_kind:     by_value
      - .offset:         80
        .size:           8
        .value_kind:     by_value
      - .address_space:  global
        .offset:         88
        .size:           8
        .value_kind:     global_buffer
      - .offset:         96
        .size:           8
        .value_kind:     by_value
      - .address_space:  global
        .offset:         104
        .size:           8
        .value_kind:     global_buffer
      - .offset:         112
        .size:           8
        .value_kind:     by_value
      - .offset:         120
        .size:           8
        .value_kind:     by_value
      - .offset:         128
        .size:           8
        .value_kind:     by_value
      - .offset:         136
        .size:           4
        .value_kind:     by_value
      - .offset:         144
        .size:           4
        .value_kind:     hidden_block_count_x
      - .offset:         148
        .size:           4
        .value_kind:     hidden_block_count_y
      - .offset:         152
        .size:           4
        .value_kind:     hidden_block_count_z
      - .offset:         156
        .size:           2
        .value_kind:     hidden_group_size_x
      - .offset:         158
        .size:           2
        .value_kind:     hidden_group_size_y
      - .offset:         160
        .size:           2
        .value_kind:     hidden_group_size_z
      - .offset:         162
        .size:           2
        .value_kind:     hidden_remainder_x
      - .offset:         164
        .size:           2
        .value_kind:     hidden_remainder_y
      - .offset:         166
        .size:           2
        .value_kind:     hidden_remainder_z
      - .offset:         184
        .size:           8
        .value_kind:     hidden_global_offset_x
      - .offset:         192
        .size:           8
        .value_kind:     hidden_global_offset_y
      - .offset:         200
        .size:           8
        .value_kind:     hidden_global_offset_z
      - .offset:         208
        .size:           2
        .value_kind:     hidden_grid_dims
    .group_segment_fixed_size: 8192
    .kernarg_segment_align: 8
    .kernarg_segment_size: 400
    .language:       OpenCL C
    .language_version:
      - 2
      - 0
    .max_flat_workgroup_size: 1024
    .name:           _ZL19rocblas_sbmv_kernelILb1ELi64ELi16EPKdS1_PdEviiT2_lT3_lllS4_lllS3_lT4_llli
    .private_segment_fixed_size: 0
    .sgpr_count:     56
    .sgpr_spill_count: 0
    .symbol:         _ZL19rocblas_sbmv_kernelILb1ELi64ELi16EPKdS1_PdEviiT2_lT3_lllS4_lllS3_lT4_llli.kd
    .uniform_work_group_size: 1
    .uses_dynamic_stack: false
    .vgpr_count:     21
    .vgpr_spill_count: 0
    .wavefront_size: 64
  - .args:
      - .offset:         0
        .size:           4
        .value_kind:     by_value
      - .offset:         4
        .size:           4
        .value_kind:     by_value
      - .address_space:  global
        .offset:         8
        .size:           8
        .value_kind:     global_buffer
      - .offset:         16
        .size:           8
        .value_kind:     by_value
      - .address_space:  global
        .offset:         24
        .size:           8
        .value_kind:     global_buffer
      - .offset:         32
        .size:           8
        .value_kind:     by_value
      - .offset:         40
        .size:           8
        .value_kind:     by_value
      - .offset:         48
        .size:           8
        .value_kind:     by_value
      - .address_space:  global
        .offset:         56
        .size:           8
        .value_kind:     global_buffer
      - .offset:         64
        .size:           8
        .value_kind:     by_value
      - .offset:         72
        .size:           8
        .value_kind:     by_value
      - .offset:         80
        .size:           8
        .value_kind:     by_value
      - .address_space:  global
        .offset:         88
        .size:           8
        .value_kind:     global_buffer
      - .offset:         96
        .size:           8
        .value_kind:     by_value
      - .address_space:  global
        .offset:         104
        .size:           8
        .value_kind:     global_buffer
      - .offset:         112
        .size:           8
        .value_kind:     by_value
      - .offset:         120
        .size:           8
        .value_kind:     by_value
      - .offset:         128
        .size:           8
        .value_kind:     by_value
      - .offset:         136
        .size:           4
        .value_kind:     by_value
      - .offset:         144
        .size:           4
        .value_kind:     hidden_block_count_x
      - .offset:         148
        .size:           4
        .value_kind:     hidden_block_count_y
      - .offset:         152
        .size:           4
        .value_kind:     hidden_block_count_z
      - .offset:         156
        .size:           2
        .value_kind:     hidden_group_size_x
      - .offset:         158
        .size:           2
        .value_kind:     hidden_group_size_y
      - .offset:         160
        .size:           2
        .value_kind:     hidden_group_size_z
      - .offset:         162
        .size:           2
        .value_kind:     hidden_remainder_x
      - .offset:         164
        .size:           2
        .value_kind:     hidden_remainder_y
      - .offset:         166
        .size:           2
        .value_kind:     hidden_remainder_z
      - .offset:         184
        .size:           8
        .value_kind:     hidden_global_offset_x
      - .offset:         192
        .size:           8
        .value_kind:     hidden_global_offset_y
      - .offset:         200
        .size:           8
        .value_kind:     hidden_global_offset_z
      - .offset:         208
        .size:           2
        .value_kind:     hidden_grid_dims
    .group_segment_fixed_size: 8192
    .kernarg_segment_align: 8
    .kernarg_segment_size: 400
    .language:       OpenCL C
    .language_version:
      - 2
      - 0
    .max_flat_workgroup_size: 1024
    .name:           _ZL19rocblas_sbmv_kernelILb0ELi64ELi16EPKdS1_PdEviiT2_lT3_lllS4_lllS3_lT4_llli
    .private_segment_fixed_size: 0
    .sgpr_count:     56
    .sgpr_spill_count: 0
    .symbol:         _ZL19rocblas_sbmv_kernelILb0ELi64ELi16EPKdS1_PdEviiT2_lT3_lllS4_lllS3_lT4_llli.kd
    .uniform_work_group_size: 1
    .uses_dynamic_stack: false
    .vgpr_count:     21
    .vgpr_spill_count: 0
    .wavefront_size: 64
  - .args:
      - .offset:         0
        .size:           4
        .value_kind:     by_value
      - .offset:         4
        .size:           4
        .value_kind:     by_value
      - .offset:         8
        .size:           8
        .value_kind:     by_value
      - .offset:         16
        .size:           8
        .value_kind:     by_value
      - .address_space:  global
        .offset:         24
        .size:           8
        .value_kind:     global_buffer
      - .offset:         32
        .size:           8
        .value_kind:     by_value
      - .offset:         40
        .size:           8
        .value_kind:     by_value
      - .offset:         48
        .size:           8
        .value_kind:     by_value
      - .address_space:  global
        .offset:         56
        .size:           8
        .value_kind:     global_buffer
      - .offset:         64
        .size:           8
        .value_kind:     by_value
      - .offset:         72
        .size:           8
        .value_kind:     by_value
      - .offset:         80
        .size:           8
        .value_kind:     by_value
      - .offset:         88
        .size:           8
        .value_kind:     by_value
      - .offset:         96
        .size:           8
        .value_kind:     by_value
      - .address_space:  global
        .offset:         104
        .size:           8
        .value_kind:     global_buffer
      - .offset:         112
        .size:           8
        .value_kind:     by_value
      - .offset:         120
        .size:           8
        .value_kind:     by_value
      - .offset:         128
        .size:           8
        .value_kind:     by_value
      - .offset:         136
        .size:           4
        .value_kind:     by_value
      - .offset:         144
        .size:           4
        .value_kind:     hidden_block_count_x
      - .offset:         148
        .size:           4
        .value_kind:     hidden_block_count_y
      - .offset:         152
        .size:           4
        .value_kind:     hidden_block_count_z
      - .offset:         156
        .size:           2
        .value_kind:     hidden_group_size_x
      - .offset:         158
        .size:           2
        .value_kind:     hidden_group_size_y
      - .offset:         160
        .size:           2
        .value_kind:     hidden_group_size_z
      - .offset:         162
        .size:           2
        .value_kind:     hidden_remainder_x
      - .offset:         164
        .size:           2
        .value_kind:     hidden_remainder_y
      - .offset:         166
        .size:           2
        .value_kind:     hidden_remainder_z
      - .offset:         184
        .size:           8
        .value_kind:     hidden_global_offset_x
      - .offset:         192
        .size:           8
        .value_kind:     hidden_global_offset_y
      - .offset:         200
        .size:           8
        .value_kind:     hidden_global_offset_z
      - .offset:         208
        .size:           2
        .value_kind:     hidden_grid_dims
    .group_segment_fixed_size: 8192
    .kernarg_segment_align: 8
    .kernarg_segment_size: 400
    .language:       OpenCL C
    .language_version:
      - 2
      - 0
    .max_flat_workgroup_size: 1024
    .name:           _ZL19rocblas_sbmv_kernelILb1ELi64ELi16EdPKdPdEviiT2_lT3_lllS4_lllS3_lT4_llli
    .private_segment_fixed_size: 0
    .sgpr_count:     42
    .sgpr_spill_count: 0
    .symbol:         _ZL19rocblas_sbmv_kernelILb1ELi64ELi16EdPKdPdEviiT2_lT3_lllS4_lllS3_lT4_llli.kd
    .uniform_work_group_size: 1
    .uses_dynamic_stack: false
    .vgpr_count:     21
    .vgpr_spill_count: 0
    .wavefront_size: 64
  - .args:
      - .offset:         0
        .size:           4
        .value_kind:     by_value
      - .offset:         4
        .size:           4
        .value_kind:     by_value
      - .offset:         8
        .size:           8
        .value_kind:     by_value
      - .offset:         16
        .size:           8
        .value_kind:     by_value
      - .address_space:  global
        .offset:         24
        .size:           8
        .value_kind:     global_buffer
      - .offset:         32
        .size:           8
        .value_kind:     by_value
      - .offset:         40
        .size:           8
        .value_kind:     by_value
      - .offset:         48
        .size:           8
        .value_kind:     by_value
      - .address_space:  global
        .offset:         56
        .size:           8
        .value_kind:     global_buffer
      - .offset:         64
        .size:           8
        .value_kind:     by_value
      - .offset:         72
        .size:           8
        .value_kind:     by_value
      - .offset:         80
        .size:           8
        .value_kind:     by_value
      - .offset:         88
        .size:           8
        .value_kind:     by_value
      - .offset:         96
        .size:           8
        .value_kind:     by_value
      - .address_space:  global
        .offset:         104
        .size:           8
        .value_kind:     global_buffer
      - .offset:         112
        .size:           8
        .value_kind:     by_value
      - .offset:         120
        .size:           8
        .value_kind:     by_value
      - .offset:         128
        .size:           8
        .value_kind:     by_value
      - .offset:         136
        .size:           4
        .value_kind:     by_value
      - .offset:         144
        .size:           4
        .value_kind:     hidden_block_count_x
      - .offset:         148
        .size:           4
        .value_kind:     hidden_block_count_y
      - .offset:         152
        .size:           4
        .value_kind:     hidden_block_count_z
      - .offset:         156
        .size:           2
        .value_kind:     hidden_group_size_x
      - .offset:         158
        .size:           2
        .value_kind:     hidden_group_size_y
      - .offset:         160
        .size:           2
        .value_kind:     hidden_group_size_z
      - .offset:         162
        .size:           2
        .value_kind:     hidden_remainder_x
      - .offset:         164
        .size:           2
        .value_kind:     hidden_remainder_y
      - .offset:         166
        .size:           2
        .value_kind:     hidden_remainder_z
      - .offset:         184
        .size:           8
        .value_kind:     hidden_global_offset_x
      - .offset:         192
        .size:           8
        .value_kind:     hidden_global_offset_y
      - .offset:         200
        .size:           8
        .value_kind:     hidden_global_offset_z
      - .offset:         208
        .size:           2
        .value_kind:     hidden_grid_dims
    .group_segment_fixed_size: 8192
    .kernarg_segment_align: 8
    .kernarg_segment_size: 400
    .language:       OpenCL C
    .language_version:
      - 2
      - 0
    .max_flat_workgroup_size: 1024
    .name:           _ZL19rocblas_sbmv_kernelILb0ELi64ELi16EdPKdPdEviiT2_lT3_lllS4_lllS3_lT4_llli
    .private_segment_fixed_size: 0
    .sgpr_count:     42
    .sgpr_spill_count: 0
    .symbol:         _ZL19rocblas_sbmv_kernelILb0ELi64ELi16EdPKdPdEviiT2_lT3_lllS4_lllS3_lT4_llli.kd
    .uniform_work_group_size: 1
    .uses_dynamic_stack: false
    .vgpr_count:     21
    .vgpr_spill_count: 0
    .wavefront_size: 64
  - .args:
      - .offset:         0
        .size:           4
        .value_kind:     by_value
      - .offset:         4
        .size:           4
        .value_kind:     by_value
      - .address_space:  global
        .offset:         8
        .size:           8
        .value_kind:     global_buffer
      - .offset:         16
        .size:           8
        .value_kind:     by_value
      - .address_space:  global
        .offset:         24
        .size:           8
        .value_kind:     global_buffer
      - .offset:         32
        .size:           8
        .value_kind:     by_value
      - .offset:         40
        .size:           8
        .value_kind:     by_value
      - .offset:         48
        .size:           8
        .value_kind:     by_value
      - .address_space:  global
        .offset:         56
        .size:           8
        .value_kind:     global_buffer
      - .offset:         64
        .size:           8
        .value_kind:     by_value
      - .offset:         72
        .size:           8
        .value_kind:     by_value
      - .offset:         80
        .size:           8
        .value_kind:     by_value
      - .address_space:  global
        .offset:         88
        .size:           8
        .value_kind:     global_buffer
      - .offset:         96
        .size:           8
        .value_kind:     by_value
      - .address_space:  global
        .offset:         104
        .size:           8
        .value_kind:     global_buffer
      - .offset:         112
        .size:           8
        .value_kind:     by_value
      - .offset:         120
        .size:           8
        .value_kind:     by_value
      - .offset:         128
        .size:           8
        .value_kind:     by_value
      - .offset:         136
        .size:           4
        .value_kind:     by_value
      - .offset:         144
        .size:           4
        .value_kind:     hidden_block_count_x
      - .offset:         148
        .size:           4
        .value_kind:     hidden_block_count_y
      - .offset:         152
        .size:           4
        .value_kind:     hidden_block_count_z
      - .offset:         156
        .size:           2
        .value_kind:     hidden_group_size_x
      - .offset:         158
        .size:           2
        .value_kind:     hidden_group_size_y
      - .offset:         160
        .size:           2
        .value_kind:     hidden_group_size_z
      - .offset:         162
        .size:           2
        .value_kind:     hidden_remainder_x
      - .offset:         164
        .size:           2
        .value_kind:     hidden_remainder_y
      - .offset:         166
        .size:           2
        .value_kind:     hidden_remainder_z
      - .offset:         184
        .size:           8
        .value_kind:     hidden_global_offset_x
      - .offset:         192
        .size:           8
        .value_kind:     hidden_global_offset_y
      - .offset:         200
        .size:           8
        .value_kind:     hidden_global_offset_z
      - .offset:         208
        .size:           2
        .value_kind:     hidden_grid_dims
    .group_segment_fixed_size: 4096
    .kernarg_segment_align: 8
    .kernarg_segment_size: 400
    .language:       OpenCL C
    .language_version:
      - 2
      - 0
    .max_flat_workgroup_size: 1024
    .name:           _ZL19rocblas_sbmv_kernelILb1ELi64ELi16EPKfPKS1_PKPfEviiT2_lT3_lllS8_lllS7_lT4_llli
    .private_segment_fixed_size: 0
    .sgpr_count:     39
    .sgpr_spill_count: 0
    .symbol:         _ZL19rocblas_sbmv_kernelILb1ELi64ELi16EPKfPKS1_PKPfEviiT2_lT3_lllS8_lllS7_lT4_llli.kd
    .uniform_work_group_size: 1
    .uses_dynamic_stack: false
    .vgpr_count:     21
    .vgpr_spill_count: 0
    .wavefront_size: 64
  - .args:
      - .offset:         0
        .size:           4
        .value_kind:     by_value
      - .offset:         4
        .size:           4
        .value_kind:     by_value
      - .address_space:  global
        .offset:         8
        .size:           8
        .value_kind:     global_buffer
      - .offset:         16
        .size:           8
        .value_kind:     by_value
      - .address_space:  global
        .offset:         24
        .size:           8
        .value_kind:     global_buffer
      - .offset:         32
        .size:           8
        .value_kind:     by_value
      - .offset:         40
        .size:           8
        .value_kind:     by_value
      - .offset:         48
        .size:           8
        .value_kind:     by_value
      - .address_space:  global
        .offset:         56
        .size:           8
        .value_kind:     global_buffer
      - .offset:         64
        .size:           8
        .value_kind:     by_value
      - .offset:         72
        .size:           8
        .value_kind:     by_value
      - .offset:         80
        .size:           8
        .value_kind:     by_value
      - .address_space:  global
        .offset:         88
        .size:           8
        .value_kind:     global_buffer
      - .offset:         96
        .size:           8
        .value_kind:     by_value
      - .address_space:  global
        .offset:         104
        .size:           8
        .value_kind:     global_buffer
      - .offset:         112
        .size:           8
        .value_kind:     by_value
      - .offset:         120
        .size:           8
        .value_kind:     by_value
      - .offset:         128
        .size:           8
        .value_kind:     by_value
      - .offset:         136
        .size:           4
        .value_kind:     by_value
      - .offset:         144
        .size:           4
        .value_kind:     hidden_block_count_x
      - .offset:         148
        .size:           4
        .value_kind:     hidden_block_count_y
      - .offset:         152
        .size:           4
        .value_kind:     hidden_block_count_z
      - .offset:         156
        .size:           2
        .value_kind:     hidden_group_size_x
      - .offset:         158
        .size:           2
        .value_kind:     hidden_group_size_y
      - .offset:         160
        .size:           2
        .value_kind:     hidden_group_size_z
      - .offset:         162
        .size:           2
        .value_kind:     hidden_remainder_x
      - .offset:         164
        .size:           2
        .value_kind:     hidden_remainder_y
      - .offset:         166
        .size:           2
        .value_kind:     hidden_remainder_z
      - .offset:         184
        .size:           8
        .value_kind:     hidden_global_offset_x
      - .offset:         192
        .size:           8
        .value_kind:     hidden_global_offset_y
      - .offset:         200
        .size:           8
        .value_kind:     hidden_global_offset_z
      - .offset:         208
        .size:           2
        .value_kind:     hidden_grid_dims
    .group_segment_fixed_size: 4096
    .kernarg_segment_align: 8
    .kernarg_segment_size: 400
    .language:       OpenCL C
    .language_version:
      - 2
      - 0
    .max_flat_workgroup_size: 1024
    .name:           _ZL19rocblas_sbmv_kernelILb0ELi64ELi16EPKfPKS1_PKPfEviiT2_lT3_lllS8_lllS7_lT4_llli
    .private_segment_fixed_size: 0
    .sgpr_count:     39
    .sgpr_spill_count: 0
    .symbol:         _ZL19rocblas_sbmv_kernelILb0ELi64ELi16EPKfPKS1_PKPfEviiT2_lT3_lllS8_lllS7_lT4_llli.kd
    .uniform_work_group_size: 1
    .uses_dynamic_stack: false
    .vgpr_count:     21
    .vgpr_spill_count: 0
    .wavefront_size: 64
  - .args:
      - .offset:         0
        .size:           4
        .value_kind:     by_value
      - .offset:         4
        .size:           4
        .value_kind:     by_value
      - .offset:         8
        .size:           4
        .value_kind:     by_value
      - .offset:         16
        .size:           8
        .value_kind:     by_value
      - .address_space:  global
        .offset:         24
        .size:           8
        .value_kind:     global_buffer
      - .offset:         32
        .size:           8
        .value_kind:     by_value
      - .offset:         40
        .size:           8
        .value_kind:     by_value
      - .offset:         48
        .size:           8
        .value_kind:     by_value
      - .address_space:  global
        .offset:         56
        .size:           8
        .value_kind:     global_buffer
      - .offset:         64
        .size:           8
        .value_kind:     by_value
      - .offset:         72
        .size:           8
        .value_kind:     by_value
      - .offset:         80
        .size:           8
        .value_kind:     by_value
      - .offset:         88
        .size:           4
        .value_kind:     by_value
      - .offset:         96
        .size:           8
        .value_kind:     by_value
      - .address_space:  global
        .offset:         104
        .size:           8
        .value_kind:     global_buffer
      - .offset:         112
        .size:           8
        .value_kind:     by_value
      - .offset:         120
        .size:           8
        .value_kind:     by_value
      - .offset:         128
        .size:           8
        .value_kind:     by_value
      - .offset:         136
        .size:           4
        .value_kind:     by_value
      - .offset:         144
        .size:           4
        .value_kind:     hidden_block_count_x
      - .offset:         148
        .size:           4
        .value_kind:     hidden_block_count_y
      - .offset:         152
        .size:           4
        .value_kind:     hidden_block_count_z
      - .offset:         156
        .size:           2
        .value_kind:     hidden_group_size_x
      - .offset:         158
        .size:           2
        .value_kind:     hidden_group_size_y
      - .offset:         160
        .size:           2
        .value_kind:     hidden_group_size_z
      - .offset:         162
        .size:           2
        .value_kind:     hidden_remainder_x
      - .offset:         164
        .size:           2
        .value_kind:     hidden_remainder_y
      - .offset:         166
        .size:           2
        .value_kind:     hidden_remainder_z
      - .offset:         184
        .size:           8
        .value_kind:     hidden_global_offset_x
      - .offset:         192
        .size:           8
        .value_kind:     hidden_global_offset_y
      - .offset:         200
        .size:           8
        .value_kind:     hidden_global_offset_z
      - .offset:         208
        .size:           2
        .value_kind:     hidden_grid_dims
    .group_segment_fixed_size: 4096
    .kernarg_segment_align: 8
    .kernarg_segment_size: 400
    .language:       OpenCL C
    .language_version:
      - 2
      - 0
    .max_flat_workgroup_size: 1024
    .name:           _ZL19rocblas_sbmv_kernelILb1ELi64ELi16EfPKPKfPKPfEviiT2_lT3_lllS8_lllS7_lT4_llli
    .private_segment_fixed_size: 0
    .sgpr_count:     38
    .sgpr_spill_count: 0
    .symbol:         _ZL19rocblas_sbmv_kernelILb1ELi64ELi16EfPKPKfPKPfEviiT2_lT3_lllS8_lllS7_lT4_llli.kd
    .uniform_work_group_size: 1
    .uses_dynamic_stack: false
    .vgpr_count:     21
    .vgpr_spill_count: 0
    .wavefront_size: 64
  - .args:
      - .offset:         0
        .size:           4
        .value_kind:     by_value
      - .offset:         4
        .size:           4
        .value_kind:     by_value
      - .offset:         8
        .size:           4
        .value_kind:     by_value
      - .offset:         16
        .size:           8
        .value_kind:     by_value
      - .address_space:  global
        .offset:         24
        .size:           8
        .value_kind:     global_buffer
      - .offset:         32
        .size:           8
        .value_kind:     by_value
      - .offset:         40
        .size:           8
        .value_kind:     by_value
      - .offset:         48
        .size:           8
        .value_kind:     by_value
      - .address_space:  global
        .offset:         56
        .size:           8
        .value_kind:     global_buffer
      - .offset:         64
        .size:           8
        .value_kind:     by_value
      - .offset:         72
        .size:           8
        .value_kind:     by_value
      - .offset:         80
        .size:           8
        .value_kind:     by_value
      - .offset:         88
        .size:           4
        .value_kind:     by_value
      - .offset:         96
        .size:           8
        .value_kind:     by_value
      - .address_space:  global
        .offset:         104
        .size:           8
        .value_kind:     global_buffer
      - .offset:         112
        .size:           8
        .value_kind:     by_value
      - .offset:         120
        .size:           8
        .value_kind:     by_value
      - .offset:         128
        .size:           8
        .value_kind:     by_value
      - .offset:         136
        .size:           4
        .value_kind:     by_value
      - .offset:         144
        .size:           4
        .value_kind:     hidden_block_count_x
      - .offset:         148
        .size:           4
        .value_kind:     hidden_block_count_y
      - .offset:         152
        .size:           4
        .value_kind:     hidden_block_count_z
      - .offset:         156
        .size:           2
        .value_kind:     hidden_group_size_x
      - .offset:         158
        .size:           2
        .value_kind:     hidden_group_size_y
      - .offset:         160
        .size:           2
        .value_kind:     hidden_group_size_z
      - .offset:         162
        .size:           2
        .value_kind:     hidden_remainder_x
      - .offset:         164
        .size:           2
        .value_kind:     hidden_remainder_y
      - .offset:         166
        .size:           2
        .value_kind:     hidden_remainder_z
      - .offset:         184
        .size:           8
        .value_kind:     hidden_global_offset_x
      - .offset:         192
        .size:           8
        .value_kind:     hidden_global_offset_y
      - .offset:         200
        .size:           8
        .value_kind:     hidden_global_offset_z
      - .offset:         208
        .size:           2
        .value_kind:     hidden_grid_dims
    .group_segment_fixed_size: 4096
    .kernarg_segment_align: 8
    .kernarg_segment_size: 400
    .language:       OpenCL C
    .language_version:
      - 2
      - 0
    .max_flat_workgroup_size: 1024
    .name:           _ZL19rocblas_sbmv_kernelILb0ELi64ELi16EfPKPKfPKPfEviiT2_lT3_lllS8_lllS7_lT4_llli
    .private_segment_fixed_size: 0
    .sgpr_count:     36
    .sgpr_spill_count: 0
    .symbol:         _ZL19rocblas_sbmv_kernelILb0ELi64ELi16EfPKPKfPKPfEviiT2_lT3_lllS8_lllS7_lT4_llli.kd
    .uniform_work_group_size: 1
    .uses_dynamic_stack: false
    .vgpr_count:     21
    .vgpr_spill_count: 0
    .wavefront_size: 64
  - .args:
      - .offset:         0
        .size:           4
        .value_kind:     by_value
      - .offset:         4
        .size:           4
        .value_kind:     by_value
      - .address_space:  global
        .offset:         8
        .size:           8
        .value_kind:     global_buffer
      - .offset:         16
        .size:           8
        .value_kind:     by_value
      - .address_space:  global
        .offset:         24
        .size:           8
        .value_kind:     global_buffer
      - .offset:         32
        .size:           8
        .value_kind:     by_value
      - .offset:         40
        .size:           8
        .value_kind:     by_value
      - .offset:         48
        .size:           8
        .value_kind:     by_value
      - .address_space:  global
        .offset:         56
        .size:           8
        .value_kind:     global_buffer
      - .offset:         64
        .size:           8
        .value_kind:     by_value
      - .offset:         72
        .size:           8
        .value_kind:     by_value
      - .offset:         80
        .size:           8
        .value_kind:     by_value
      - .address_space:  global
        .offset:         88
        .size:           8
        .value_kind:     global_buffer
      - .offset:         96
        .size:           8
        .value_kind:     by_value
      - .address_space:  global
        .offset:         104
        .size:           8
        .value_kind:     global_buffer
      - .offset:         112
        .size:           8
        .value_kind:     by_value
      - .offset:         120
        .size:           8
        .value_kind:     by_value
      - .offset:         128
        .size:           8
        .value_kind:     by_value
      - .offset:         136
        .size:           4
        .value_kind:     by_value
      - .offset:         144
        .size:           4
        .value_kind:     hidden_block_count_x
      - .offset:         148
        .size:           4
        .value_kind:     hidden_block_count_y
      - .offset:         152
        .size:           4
        .value_kind:     hidden_block_count_z
      - .offset:         156
        .size:           2
        .value_kind:     hidden_group_size_x
      - .offset:         158
        .size:           2
        .value_kind:     hidden_group_size_y
      - .offset:         160
        .size:           2
        .value_kind:     hidden_group_size_z
      - .offset:         162
        .size:           2
        .value_kind:     hidden_remainder_x
      - .offset:         164
        .size:           2
        .value_kind:     hidden_remainder_y
      - .offset:         166
        .size:           2
        .value_kind:     hidden_remainder_z
      - .offset:         184
        .size:           8
        .value_kind:     hidden_global_offset_x
      - .offset:         192
        .size:           8
        .value_kind:     hidden_global_offset_y
      - .offset:         200
        .size:           8
        .value_kind:     hidden_global_offset_z
      - .offset:         208
        .size:           2
        .value_kind:     hidden_grid_dims
    .group_segment_fixed_size: 8192
    .kernarg_segment_align: 8
    .kernarg_segment_size: 400
    .language:       OpenCL C
    .language_version:
      - 2
      - 0
    .max_flat_workgroup_size: 1024
    .name:           _ZL19rocblas_sbmv_kernelILb1ELi64ELi16EPKdPKS1_PKPdEviiT2_lT3_lllS8_lllS7_lT4_llli
    .private_segment_fixed_size: 0
    .sgpr_count:     40
    .sgpr_spill_count: 0
    .symbol:         _ZL19rocblas_sbmv_kernelILb1ELi64ELi16EPKdPKS1_PKPdEviiT2_lT3_lllS8_lllS7_lT4_llli.kd
    .uniform_work_group_size: 1
    .uses_dynamic_stack: false
    .vgpr_count:     21
    .vgpr_spill_count: 0
    .wavefront_size: 64
  - .args:
      - .offset:         0
        .size:           4
        .value_kind:     by_value
      - .offset:         4
        .size:           4
        .value_kind:     by_value
      - .address_space:  global
        .offset:         8
        .size:           8
        .value_kind:     global_buffer
      - .offset:         16
        .size:           8
        .value_kind:     by_value
      - .address_space:  global
        .offset:         24
        .size:           8
        .value_kind:     global_buffer
      - .offset:         32
        .size:           8
        .value_kind:     by_value
      - .offset:         40
        .size:           8
        .value_kind:     by_value
      - .offset:         48
        .size:           8
        .value_kind:     by_value
      - .address_space:  global
        .offset:         56
        .size:           8
        .value_kind:     global_buffer
      - .offset:         64
        .size:           8
        .value_kind:     by_value
      - .offset:         72
        .size:           8
        .value_kind:     by_value
      - .offset:         80
        .size:           8
        .value_kind:     by_value
      - .address_space:  global
        .offset:         88
        .size:           8
        .value_kind:     global_buffer
      - .offset:         96
        .size:           8
        .value_kind:     by_value
      - .address_space:  global
        .offset:         104
        .size:           8
        .value_kind:     global_buffer
      - .offset:         112
        .size:           8
        .value_kind:     by_value
      - .offset:         120
        .size:           8
        .value_kind:     by_value
      - .offset:         128
        .size:           8
        .value_kind:     by_value
      - .offset:         136
        .size:           4
        .value_kind:     by_value
      - .offset:         144
        .size:           4
        .value_kind:     hidden_block_count_x
      - .offset:         148
        .size:           4
        .value_kind:     hidden_block_count_y
      - .offset:         152
        .size:           4
        .value_kind:     hidden_block_count_z
      - .offset:         156
        .size:           2
        .value_kind:     hidden_group_size_x
      - .offset:         158
        .size:           2
        .value_kind:     hidden_group_size_y
      - .offset:         160
        .size:           2
        .value_kind:     hidden_group_size_z
      - .offset:         162
        .size:           2
        .value_kind:     hidden_remainder_x
      - .offset:         164
        .size:           2
        .value_kind:     hidden_remainder_y
      - .offset:         166
        .size:           2
        .value_kind:     hidden_remainder_z
      - .offset:         184
        .size:           8
        .value_kind:     hidden_global_offset_x
      - .offset:         192
        .size:           8
        .value_kind:     hidden_global_offset_y
      - .offset:         200
        .size:           8
        .value_kind:     hidden_global_offset_z
      - .offset:         208
        .size:           2
        .value_kind:     hidden_grid_dims
    .group_segment_fixed_size: 8192
    .kernarg_segment_align: 8
    .kernarg_segment_size: 400
    .language:       OpenCL C
    .language_version:
      - 2
      - 0
    .max_flat_workgroup_size: 1024
    .name:           _ZL19rocblas_sbmv_kernelILb0ELi64ELi16EPKdPKS1_PKPdEviiT2_lT3_lllS8_lllS7_lT4_llli
    .private_segment_fixed_size: 0
    .sgpr_count:     40
    .sgpr_spill_count: 0
    .symbol:         _ZL19rocblas_sbmv_kernelILb0ELi64ELi16EPKdPKS1_PKPdEviiT2_lT3_lllS8_lllS7_lT4_llli.kd
    .uniform_work_group_size: 1
    .uses_dynamic_stack: false
    .vgpr_count:     21
    .vgpr_spill_count: 0
    .wavefront_size: 64
  - .args:
      - .offset:         0
        .size:           4
        .value_kind:     by_value
      - .offset:         4
        .size:           4
        .value_kind:     by_value
      - .offset:         8
        .size:           8
        .value_kind:     by_value
      - .offset:         16
        .size:           8
        .value_kind:     by_value
      - .address_space:  global
        .offset:         24
        .size:           8
        .value_kind:     global_buffer
      - .offset:         32
        .size:           8
        .value_kind:     by_value
      - .offset:         40
        .size:           8
        .value_kind:     by_value
      - .offset:         48
        .size:           8
        .value_kind:     by_value
      - .address_space:  global
        .offset:         56
        .size:           8
        .value_kind:     global_buffer
      - .offset:         64
        .size:           8
        .value_kind:     by_value
      - .offset:         72
        .size:           8
        .value_kind:     by_value
      - .offset:         80
        .size:           8
        .value_kind:     by_value
      - .offset:         88
        .size:           8
        .value_kind:     by_value
      - .offset:         96
        .size:           8
        .value_kind:     by_value
      - .address_space:  global
        .offset:         104
        .size:           8
        .value_kind:     global_buffer
      - .offset:         112
        .size:           8
        .value_kind:     by_value
      - .offset:         120
        .size:           8
        .value_kind:     by_value
      - .offset:         128
        .size:           8
        .value_kind:     by_value
      - .offset:         136
        .size:           4
        .value_kind:     by_value
      - .offset:         144
        .size:           4
        .value_kind:     hidden_block_count_x
      - .offset:         148
        .size:           4
        .value_kind:     hidden_block_count_y
      - .offset:         152
        .size:           4
        .value_kind:     hidden_block_count_z
      - .offset:         156
        .size:           2
        .value_kind:     hidden_group_size_x
      - .offset:         158
        .size:           2
        .value_kind:     hidden_group_size_y
      - .offset:         160
        .size:           2
        .value_kind:     hidden_group_size_z
      - .offset:         162
        .size:           2
        .value_kind:     hidden_remainder_x
      - .offset:         164
        .size:           2
        .value_kind:     hidden_remainder_y
      - .offset:         166
        .size:           2
        .value_kind:     hidden_remainder_z
      - .offset:         184
        .size:           8
        .value_kind:     hidden_global_offset_x
      - .offset:         192
        .size:           8
        .value_kind:     hidden_global_offset_y
      - .offset:         200
        .size:           8
        .value_kind:     hidden_global_offset_z
      - .offset:         208
        .size:           2
        .value_kind:     hidden_grid_dims
    .group_segment_fixed_size: 8192
    .kernarg_segment_align: 8
    .kernarg_segment_size: 400
    .language:       OpenCL C
    .language_version:
      - 2
      - 0
    .max_flat_workgroup_size: 1024
    .name:           _ZL19rocblas_sbmv_kernelILb1ELi64ELi16EdPKPKdPKPdEviiT2_lT3_lllS8_lllS7_lT4_llli
    .private_segment_fixed_size: 0
    .sgpr_count:     40
    .sgpr_spill_count: 0
    .symbol:         _ZL19rocblas_sbmv_kernelILb1ELi64ELi16EdPKPKdPKPdEviiT2_lT3_lllS8_lllS7_lT4_llli.kd
    .uniform_work_group_size: 1
    .uses_dynamic_stack: false
    .vgpr_count:     21
    .vgpr_spill_count: 0
    .wavefront_size: 64
  - .args:
      - .offset:         0
        .size:           4
        .value_kind:     by_value
      - .offset:         4
        .size:           4
        .value_kind:     by_value
      - .offset:         8
        .size:           8
        .value_kind:     by_value
      - .offset:         16
        .size:           8
        .value_kind:     by_value
      - .address_space:  global
        .offset:         24
        .size:           8
        .value_kind:     global_buffer
      - .offset:         32
        .size:           8
        .value_kind:     by_value
      - .offset:         40
        .size:           8
        .value_kind:     by_value
      - .offset:         48
        .size:           8
        .value_kind:     by_value
      - .address_space:  global
        .offset:         56
        .size:           8
        .value_kind:     global_buffer
      - .offset:         64
        .size:           8
        .value_kind:     by_value
      - .offset:         72
        .size:           8
        .value_kind:     by_value
      - .offset:         80
        .size:           8
        .value_kind:     by_value
      - .offset:         88
        .size:           8
        .value_kind:     by_value
      - .offset:         96
        .size:           8
        .value_kind:     by_value
      - .address_space:  global
        .offset:         104
        .size:           8
        .value_kind:     global_buffer
      - .offset:         112
        .size:           8
        .value_kind:     by_value
      - .offset:         120
        .size:           8
        .value_kind:     by_value
      - .offset:         128
        .size:           8
        .value_kind:     by_value
      - .offset:         136
        .size:           4
        .value_kind:     by_value
      - .offset:         144
        .size:           4
        .value_kind:     hidden_block_count_x
      - .offset:         148
        .size:           4
        .value_kind:     hidden_block_count_y
      - .offset:         152
        .size:           4
        .value_kind:     hidden_block_count_z
      - .offset:         156
        .size:           2
        .value_kind:     hidden_group_size_x
      - .offset:         158
        .size:           2
        .value_kind:     hidden_group_size_y
      - .offset:         160
        .size:           2
        .value_kind:     hidden_group_size_z
      - .offset:         162
        .size:           2
        .value_kind:     hidden_remainder_x
      - .offset:         164
        .size:           2
        .value_kind:     hidden_remainder_y
      - .offset:         166
        .size:           2
        .value_kind:     hidden_remainder_z
      - .offset:         184
        .size:           8
        .value_kind:     hidden_global_offset_x
      - .offset:         192
        .size:           8
        .value_kind:     hidden_global_offset_y
      - .offset:         200
        .size:           8
        .value_kind:     hidden_global_offset_z
      - .offset:         208
        .size:           2
        .value_kind:     hidden_grid_dims
    .group_segment_fixed_size: 8192
    .kernarg_segment_align: 8
    .kernarg_segment_size: 400
    .language:       OpenCL C
    .language_version:
      - 2
      - 0
    .max_flat_workgroup_size: 1024
    .name:           _ZL19rocblas_sbmv_kernelILb0ELi64ELi16EdPKPKdPKPdEviiT2_lT3_lllS8_lllS7_lT4_llli
    .private_segment_fixed_size: 0
    .sgpr_count:     39
    .sgpr_spill_count: 0
    .symbol:         _ZL19rocblas_sbmv_kernelILb0ELi64ELi16EdPKPKdPKPdEviiT2_lT3_lllS8_lllS7_lT4_llli.kd
    .uniform_work_group_size: 1
    .uses_dynamic_stack: false
    .vgpr_count:     21
    .vgpr_spill_count: 0
    .wavefront_size: 64
amdhsa.target:   amdgcn-amd-amdhsa--gfx906
amdhsa.version:
  - 1
  - 2
...

	.end_amdgpu_metadata
